;; amdgpu-corpus repo=ROCm/rocFFT kind=compiled arch=gfx1201 opt=O3
	.text
	.amdgcn_target "amdgcn-amd-amdhsa--gfx1201"
	.amdhsa_code_object_version 6
	.protected	fft_rtc_back_len1496_factors_17_8_11_wgs_187_tpt_187_halfLds_dp_op_CI_CI_unitstride_sbrr_R2C_dirReg ; -- Begin function fft_rtc_back_len1496_factors_17_8_11_wgs_187_tpt_187_halfLds_dp_op_CI_CI_unitstride_sbrr_R2C_dirReg
	.globl	fft_rtc_back_len1496_factors_17_8_11_wgs_187_tpt_187_halfLds_dp_op_CI_CI_unitstride_sbrr_R2C_dirReg
	.p2align	8
	.type	fft_rtc_back_len1496_factors_17_8_11_wgs_187_tpt_187_halfLds_dp_op_CI_CI_unitstride_sbrr_R2C_dirReg,@function
fft_rtc_back_len1496_factors_17_8_11_wgs_187_tpt_187_halfLds_dp_op_CI_CI_unitstride_sbrr_R2C_dirReg: ; @fft_rtc_back_len1496_factors_17_8_11_wgs_187_tpt_187_halfLds_dp_op_CI_CI_unitstride_sbrr_R2C_dirReg
; %bb.0:
	s_clause 0x2
	s_load_b128 s[8:11], s[0:1], 0x0
	s_load_b128 s[4:7], s[0:1], 0x58
	;; [unrolled: 1-line block ×3, first 2 shown]
	v_mul_u32_u24_e32 v1, 0x15f, v0
	v_mov_b32_e32 v3, 0
	s_delay_alu instid0(VALU_DEP_2) | instskip(NEXT) | instid1(VALU_DEP_1)
	v_lshrrev_b32_e32 v1, 16, v1
	v_add_nc_u32_e32 v5, ttmp9, v1
	v_mov_b32_e32 v1, 0
	v_mov_b32_e32 v2, 0
	;; [unrolled: 1-line block ×3, first 2 shown]
	s_wait_kmcnt 0x0
	v_cmp_lt_u64_e64 s2, s[10:11], 2
	s_delay_alu instid0(VALU_DEP_1)
	s_and_b32 vcc_lo, exec_lo, s2
	s_cbranch_vccnz .LBB0_8
; %bb.1:
	s_load_b64 s[2:3], s[0:1], 0x10
	v_mov_b32_e32 v1, 0
	v_mov_b32_e32 v2, 0
	s_add_nc_u64 s[16:17], s[14:15], 8
	s_add_nc_u64 s[18:19], s[12:13], 8
	s_mov_b64 s[20:21], 1
	s_delay_alu instid0(VALU_DEP_1)
	v_dual_mov_b32 v81, v2 :: v_dual_mov_b32 v80, v1
	s_wait_kmcnt 0x0
	s_add_nc_u64 s[22:23], s[2:3], 8
	s_mov_b32 s3, 0
.LBB0_2:                                ; =>This Inner Loop Header: Depth=1
	s_load_b64 s[24:25], s[22:23], 0x0
                                        ; implicit-def: $vgpr84_vgpr85
	s_mov_b32 s2, exec_lo
	s_wait_kmcnt 0x0
	v_or_b32_e32 v4, s25, v6
	s_delay_alu instid0(VALU_DEP_1)
	v_cmpx_ne_u64_e32 0, v[3:4]
	s_wait_alu 0xfffe
	s_xor_b32 s26, exec_lo, s2
	s_cbranch_execz .LBB0_4
; %bb.3:                                ;   in Loop: Header=BB0_2 Depth=1
	s_cvt_f32_u32 s2, s24
	s_cvt_f32_u32 s27, s25
	s_sub_nc_u64 s[30:31], 0, s[24:25]
	s_wait_alu 0xfffe
	s_delay_alu instid0(SALU_CYCLE_1) | instskip(SKIP_1) | instid1(SALU_CYCLE_2)
	s_fmamk_f32 s2, s27, 0x4f800000, s2
	s_wait_alu 0xfffe
	v_s_rcp_f32 s2, s2
	s_delay_alu instid0(TRANS32_DEP_1) | instskip(SKIP_1) | instid1(SALU_CYCLE_2)
	s_mul_f32 s2, s2, 0x5f7ffffc
	s_wait_alu 0xfffe
	s_mul_f32 s27, s2, 0x2f800000
	s_wait_alu 0xfffe
	s_delay_alu instid0(SALU_CYCLE_2) | instskip(SKIP_1) | instid1(SALU_CYCLE_2)
	s_trunc_f32 s27, s27
	s_wait_alu 0xfffe
	s_fmamk_f32 s2, s27, 0xcf800000, s2
	s_cvt_u32_f32 s29, s27
	s_wait_alu 0xfffe
	s_delay_alu instid0(SALU_CYCLE_1) | instskip(SKIP_1) | instid1(SALU_CYCLE_2)
	s_cvt_u32_f32 s28, s2
	s_wait_alu 0xfffe
	s_mul_u64 s[34:35], s[30:31], s[28:29]
	s_wait_alu 0xfffe
	s_mul_hi_u32 s37, s28, s35
	s_mul_i32 s36, s28, s35
	s_mul_hi_u32 s2, s28, s34
	s_mul_i32 s33, s29, s34
	s_wait_alu 0xfffe
	s_add_nc_u64 s[36:37], s[2:3], s[36:37]
	s_mul_hi_u32 s27, s29, s34
	s_mul_hi_u32 s38, s29, s35
	s_add_co_u32 s2, s36, s33
	s_wait_alu 0xfffe
	s_add_co_ci_u32 s2, s37, s27
	s_mul_i32 s34, s29, s35
	s_add_co_ci_u32 s35, s38, 0
	s_wait_alu 0xfffe
	s_add_nc_u64 s[34:35], s[2:3], s[34:35]
	s_wait_alu 0xfffe
	v_add_co_u32 v4, s2, s28, s34
	s_delay_alu instid0(VALU_DEP_1) | instskip(SKIP_1) | instid1(VALU_DEP_1)
	s_cmp_lg_u32 s2, 0
	s_add_co_ci_u32 s29, s29, s35
	v_readfirstlane_b32 s28, v4
	s_wait_alu 0xfffe
	s_delay_alu instid0(VALU_DEP_1)
	s_mul_u64 s[30:31], s[30:31], s[28:29]
	s_wait_alu 0xfffe
	s_mul_hi_u32 s35, s28, s31
	s_mul_i32 s34, s28, s31
	s_mul_hi_u32 s2, s28, s30
	s_mul_i32 s33, s29, s30
	s_wait_alu 0xfffe
	s_add_nc_u64 s[34:35], s[2:3], s[34:35]
	s_mul_hi_u32 s27, s29, s30
	s_mul_hi_u32 s28, s29, s31
	s_wait_alu 0xfffe
	s_add_co_u32 s2, s34, s33
	s_add_co_ci_u32 s2, s35, s27
	s_mul_i32 s30, s29, s31
	s_add_co_ci_u32 s31, s28, 0
	s_wait_alu 0xfffe
	s_add_nc_u64 s[30:31], s[2:3], s[30:31]
	s_wait_alu 0xfffe
	v_add_co_u32 v4, s2, v4, s30
	s_delay_alu instid0(VALU_DEP_1) | instskip(SKIP_1) | instid1(VALU_DEP_1)
	s_cmp_lg_u32 s2, 0
	s_add_co_ci_u32 s2, s29, s31
	v_mul_hi_u32 v13, v5, v4
	s_wait_alu 0xfffe
	v_mad_co_u64_u32 v[7:8], null, v5, s2, 0
	v_mad_co_u64_u32 v[9:10], null, v6, v4, 0
	;; [unrolled: 1-line block ×3, first 2 shown]
	s_delay_alu instid0(VALU_DEP_3) | instskip(SKIP_1) | instid1(VALU_DEP_4)
	v_add_co_u32 v4, vcc_lo, v13, v7
	s_wait_alu 0xfffd
	v_add_co_ci_u32_e32 v7, vcc_lo, 0, v8, vcc_lo
	s_delay_alu instid0(VALU_DEP_2) | instskip(SKIP_1) | instid1(VALU_DEP_2)
	v_add_co_u32 v4, vcc_lo, v4, v9
	s_wait_alu 0xfffd
	v_add_co_ci_u32_e32 v4, vcc_lo, v7, v10, vcc_lo
	s_wait_alu 0xfffd
	v_add_co_ci_u32_e32 v7, vcc_lo, 0, v12, vcc_lo
	s_delay_alu instid0(VALU_DEP_2) | instskip(SKIP_1) | instid1(VALU_DEP_2)
	v_add_co_u32 v4, vcc_lo, v4, v11
	s_wait_alu 0xfffd
	v_add_co_ci_u32_e32 v9, vcc_lo, 0, v7, vcc_lo
	s_delay_alu instid0(VALU_DEP_2) | instskip(SKIP_1) | instid1(VALU_DEP_3)
	v_mul_lo_u32 v10, s25, v4
	v_mad_co_u64_u32 v[7:8], null, s24, v4, 0
	v_mul_lo_u32 v11, s24, v9
	s_delay_alu instid0(VALU_DEP_2) | instskip(NEXT) | instid1(VALU_DEP_2)
	v_sub_co_u32 v7, vcc_lo, v5, v7
	v_add3_u32 v8, v8, v11, v10
	s_delay_alu instid0(VALU_DEP_1) | instskip(SKIP_1) | instid1(VALU_DEP_1)
	v_sub_nc_u32_e32 v10, v6, v8
	s_wait_alu 0xfffd
	v_subrev_co_ci_u32_e64 v10, s2, s25, v10, vcc_lo
	v_add_co_u32 v11, s2, v4, 2
	s_wait_alu 0xf1ff
	v_add_co_ci_u32_e64 v12, s2, 0, v9, s2
	v_sub_co_u32 v13, s2, v7, s24
	v_sub_co_ci_u32_e32 v8, vcc_lo, v6, v8, vcc_lo
	s_wait_alu 0xf1ff
	v_subrev_co_ci_u32_e64 v10, s2, 0, v10, s2
	s_delay_alu instid0(VALU_DEP_3) | instskip(NEXT) | instid1(VALU_DEP_3)
	v_cmp_le_u32_e32 vcc_lo, s24, v13
	v_cmp_eq_u32_e64 s2, s25, v8
	s_wait_alu 0xfffd
	v_cndmask_b32_e64 v13, 0, -1, vcc_lo
	v_cmp_le_u32_e32 vcc_lo, s25, v10
	s_wait_alu 0xfffd
	v_cndmask_b32_e64 v14, 0, -1, vcc_lo
	v_cmp_le_u32_e32 vcc_lo, s24, v7
	;; [unrolled: 3-line block ×3, first 2 shown]
	s_wait_alu 0xfffd
	v_cndmask_b32_e64 v15, 0, -1, vcc_lo
	v_cmp_eq_u32_e32 vcc_lo, s25, v10
	s_wait_alu 0xf1ff
	s_delay_alu instid0(VALU_DEP_2)
	v_cndmask_b32_e64 v7, v15, v7, s2
	s_wait_alu 0xfffd
	v_cndmask_b32_e32 v10, v14, v13, vcc_lo
	v_add_co_u32 v13, vcc_lo, v4, 1
	s_wait_alu 0xfffd
	v_add_co_ci_u32_e32 v14, vcc_lo, 0, v9, vcc_lo
	s_delay_alu instid0(VALU_DEP_3) | instskip(SKIP_1) | instid1(VALU_DEP_2)
	v_cmp_ne_u32_e32 vcc_lo, 0, v10
	s_wait_alu 0xfffd
	v_cndmask_b32_e32 v8, v14, v12, vcc_lo
	v_cndmask_b32_e32 v10, v13, v11, vcc_lo
	v_cmp_ne_u32_e32 vcc_lo, 0, v7
	s_wait_alu 0xfffd
	s_delay_alu instid0(VALU_DEP_2)
	v_dual_cndmask_b32 v85, v9, v8 :: v_dual_cndmask_b32 v84, v4, v10
.LBB0_4:                                ;   in Loop: Header=BB0_2 Depth=1
	s_wait_alu 0xfffe
	s_and_not1_saveexec_b32 s2, s26
	s_cbranch_execz .LBB0_6
; %bb.5:                                ;   in Loop: Header=BB0_2 Depth=1
	v_cvt_f32_u32_e32 v4, s24
	s_sub_co_i32 s26, 0, s24
	v_mov_b32_e32 v85, v3
	s_delay_alu instid0(VALU_DEP_2) | instskip(NEXT) | instid1(TRANS32_DEP_1)
	v_rcp_iflag_f32_e32 v4, v4
	v_mul_f32_e32 v4, 0x4f7ffffe, v4
	s_delay_alu instid0(VALU_DEP_1) | instskip(SKIP_1) | instid1(VALU_DEP_1)
	v_cvt_u32_f32_e32 v4, v4
	s_wait_alu 0xfffe
	v_mul_lo_u32 v7, s26, v4
	s_delay_alu instid0(VALU_DEP_1) | instskip(NEXT) | instid1(VALU_DEP_1)
	v_mul_hi_u32 v7, v4, v7
	v_add_nc_u32_e32 v4, v4, v7
	s_delay_alu instid0(VALU_DEP_1) | instskip(NEXT) | instid1(VALU_DEP_1)
	v_mul_hi_u32 v4, v5, v4
	v_mul_lo_u32 v7, v4, s24
	v_add_nc_u32_e32 v8, 1, v4
	s_delay_alu instid0(VALU_DEP_2) | instskip(NEXT) | instid1(VALU_DEP_1)
	v_sub_nc_u32_e32 v7, v5, v7
	v_subrev_nc_u32_e32 v9, s24, v7
	v_cmp_le_u32_e32 vcc_lo, s24, v7
	s_wait_alu 0xfffd
	s_delay_alu instid0(VALU_DEP_2) | instskip(NEXT) | instid1(VALU_DEP_1)
	v_dual_cndmask_b32 v7, v7, v9 :: v_dual_cndmask_b32 v4, v4, v8
	v_cmp_le_u32_e32 vcc_lo, s24, v7
	s_delay_alu instid0(VALU_DEP_2) | instskip(SKIP_1) | instid1(VALU_DEP_1)
	v_add_nc_u32_e32 v8, 1, v4
	s_wait_alu 0xfffd
	v_cndmask_b32_e32 v84, v4, v8, vcc_lo
.LBB0_6:                                ;   in Loop: Header=BB0_2 Depth=1
	s_wait_alu 0xfffe
	s_or_b32 exec_lo, exec_lo, s2
	v_mul_lo_u32 v4, v85, s24
	s_delay_alu instid0(VALU_DEP_2)
	v_mul_lo_u32 v9, v84, s25
	s_load_b64 s[26:27], s[18:19], 0x0
	v_mad_co_u64_u32 v[7:8], null, v84, s24, 0
	s_load_b64 s[24:25], s[16:17], 0x0
	s_add_nc_u64 s[20:21], s[20:21], 1
	s_add_nc_u64 s[16:17], s[16:17], 8
	s_wait_alu 0xfffe
	v_cmp_ge_u64_e64 s2, s[20:21], s[10:11]
	s_add_nc_u64 s[18:19], s[18:19], 8
	s_add_nc_u64 s[22:23], s[22:23], 8
	v_add3_u32 v4, v8, v9, v4
	v_sub_co_u32 v5, vcc_lo, v5, v7
	s_wait_alu 0xfffd
	s_delay_alu instid0(VALU_DEP_2) | instskip(SKIP_2) | instid1(VALU_DEP_1)
	v_sub_co_ci_u32_e32 v4, vcc_lo, v6, v4, vcc_lo
	s_and_b32 vcc_lo, exec_lo, s2
	s_wait_kmcnt 0x0
	v_mul_lo_u32 v6, s26, v4
	v_mul_lo_u32 v7, s27, v5
	v_mad_co_u64_u32 v[1:2], null, s26, v5, v[1:2]
	v_mul_lo_u32 v4, s24, v4
	v_mul_lo_u32 v8, s25, v5
	v_mad_co_u64_u32 v[80:81], null, s24, v5, v[80:81]
	s_delay_alu instid0(VALU_DEP_4) | instskip(NEXT) | instid1(VALU_DEP_2)
	v_add3_u32 v2, v7, v2, v6
	v_add3_u32 v81, v8, v81, v4
	s_wait_alu 0xfffe
	s_cbranch_vccnz .LBB0_9
; %bb.7:                                ;   in Loop: Header=BB0_2 Depth=1
	v_dual_mov_b32 v5, v84 :: v_dual_mov_b32 v6, v85
	s_branch .LBB0_2
.LBB0_8:
	v_dual_mov_b32 v81, v2 :: v_dual_mov_b32 v80, v1
	v_dual_mov_b32 v85, v6 :: v_dual_mov_b32 v84, v5
.LBB0_9:
	s_load_b64 s[0:1], s[0:1], 0x28
	v_mul_hi_u32 v3, 0x15e75bc, v0
                                        ; implicit-def: $vgpr82
	s_wait_kmcnt 0x0
	s_delay_alu instid0(VALU_DEP_2) | instskip(SKIP_1) | instid1(VALU_DEP_1)
	v_cmp_gt_u64_e32 vcc_lo, s[0:1], v[84:85]
	v_cmp_le_u64_e64 s0, s[0:1], v[84:85]
	s_and_saveexec_b32 s1, s0
	s_wait_alu 0xfffe
	s_xor_b32 s0, exec_lo, s1
; %bb.10:
	s_delay_alu instid0(VALU_DEP_3) | instskip(NEXT) | instid1(VALU_DEP_1)
	v_mul_u32_u24_e32 v1, 0xbb, v3
                                        ; implicit-def: $vgpr3
	v_sub_nc_u32_e32 v82, v0, v1
                                        ; implicit-def: $vgpr0
                                        ; implicit-def: $vgpr1_vgpr2
; %bb.11:
	s_wait_alu 0xfffe
	s_or_saveexec_b32 s1, s0
	s_lshl_b64 s[58:59], s[10:11], 3
	s_wait_alu 0xfffe
	s_xor_b32 exec_lo, exec_lo, s1
	s_cbranch_execz .LBB0_13
; %bb.12:
	s_add_nc_u64 s[2:3], s[12:13], s[58:59]
	v_lshlrev_b64_e32 v[1:2], 4, v[1:2]
	s_load_b64 s[2:3], s[2:3], 0x0
	s_wait_kmcnt 0x0
	v_mul_lo_u32 v6, s3, v84
	v_mul_lo_u32 v7, s2, v85
	v_mad_co_u64_u32 v[4:5], null, s2, v84, 0
	s_delay_alu instid0(VALU_DEP_1) | instskip(SKIP_1) | instid1(VALU_DEP_2)
	v_add3_u32 v5, v5, v7, v6
	v_mul_u32_u24_e32 v6, 0xbb, v3
	v_lshlrev_b64_e32 v[3:4], 4, v[4:5]
	s_delay_alu instid0(VALU_DEP_2) | instskip(NEXT) | instid1(VALU_DEP_1)
	v_sub_nc_u32_e32 v82, v0, v6
	v_lshlrev_b32_e32 v32, 4, v82
	s_delay_alu instid0(VALU_DEP_3) | instskip(SKIP_1) | instid1(VALU_DEP_4)
	v_add_co_u32 v0, s0, s4, v3
	s_wait_alu 0xf1ff
	v_add_co_ci_u32_e64 v3, s0, s5, v4, s0
	s_delay_alu instid0(VALU_DEP_2) | instskip(SKIP_1) | instid1(VALU_DEP_2)
	v_add_co_u32 v0, s0, v0, v1
	s_wait_alu 0xf1ff
	v_add_co_ci_u32_e64 v1, s0, v3, v2, s0
	s_delay_alu instid0(VALU_DEP_2) | instskip(SKIP_1) | instid1(VALU_DEP_2)
	v_add_co_u32 v28, s0, v0, v32
	s_wait_alu 0xf1ff
	v_add_co_ci_u32_e64 v29, s0, 0, v1, s0
	s_clause 0x7
	global_load_b128 v[0:3], v[28:29], off
	global_load_b128 v[4:7], v[28:29], off offset:2992
	global_load_b128 v[8:11], v[28:29], off offset:5984
	;; [unrolled: 1-line block ×7, first 2 shown]
	v_add_nc_u32_e32 v32, 0, v32
	s_wait_loadcnt 0x7
	ds_store_b128 v32, v[0:3]
	s_wait_loadcnt 0x6
	ds_store_b128 v32, v[4:7] offset:2992
	s_wait_loadcnt 0x5
	ds_store_b128 v32, v[8:11] offset:5984
	;; [unrolled: 2-line block ×7, first 2 shown]
.LBB0_13:
	s_or_b32 exec_lo, exec_lo, s1
	v_lshl_add_u32 v182, v82, 4, 0
	global_wb scope:SCOPE_SE
	s_wait_dscnt 0x0
	s_barrier_signal -1
	s_barrier_wait -1
	global_inv scope:SCOPE_SE
	ds_load_b128 v[12:15], v182 offset:22528
	ds_load_b128 v[28:31], v182 offset:1408
	ds_load_b128 v[16:19], v182
	ds_load_b128 v[20:23], v182 offset:21120
	ds_load_b128 v[32:35], v182 offset:2816
	s_mov_b32 s4, 0x4363dd80
	s_mov_b32 s2, 0x910ea3b9
	;; [unrolled: 1-line block ×8, first 2 shown]
	ds_load_b128 v[40:43], v182 offset:4224
	ds_load_b128 v[24:27], v182 offset:19712
	s_mov_b32 s42, 0x7c9e640b
	s_mov_b32 s16, 0x2b2883cd
	;; [unrolled: 1-line block ×8, first 2 shown]
	s_wait_dscnt 0x5
	v_add_f64_e64 v[142:143], v[30:31], -v[14:15]
	v_add_f64_e32 v[144:145], v[30:31], v[14:15]
	s_wait_dscnt 0x2
	v_add_f64_e64 v[88:89], v[34:35], -v[22:23]
	v_add_f64_e32 v[86:87], v[34:35], v[22:23]
	v_add_f64_e32 v[146:147], v[28:29], v[12:13]
	v_add_f64_e64 v[148:149], v[28:29], -v[12:13]
	s_mov_b32 s39, 0x3fc7851a
	s_mov_b32 s38, s12
	v_add_f64_e32 v[92:93], v[32:33], v[20:21]
	v_add_f64_e64 v[96:97], v[32:33], -v[20:21]
	ds_load_b128 v[36:39], v182 offset:18304
	ds_load_b128 v[52:55], v182 offset:5632
	s_wait_dscnt 0x2
	v_add_f64_e64 v[94:95], v[42:43], -v[26:27]
	v_add_f64_e32 v[90:91], v[42:43], v[26:27]
	s_mov_b32 s24, 0xeb564b22
	s_mov_b32 s20, 0x3259b75e
	;; [unrolled: 1-line block ×5, first 2 shown]
	s_wait_alu 0xfffe
	s_mov_b32 s50, s30
	v_add_f64_e32 v[98:99], v[40:41], v[24:25]
	v_add_f64_e64 v[108:109], v[40:41], -v[24:25]
	ds_load_b128 v[56:59], v182 offset:7040
	ds_load_b128 v[44:47], v182 offset:16896
	s_mov_b32 s48, 0x6c9a05f6
	s_mov_b32 s22, 0x6ed5f1bb
	;; [unrolled: 1-line block ×8, first 2 shown]
	s_wait_dscnt 0x2
	v_add_f64_e64 v[106:107], v[54:55], -v[38:39]
	v_add_f64_e32 v[100:101], v[54:55], v[38:39]
	s_mov_b32 s53, 0x3fe0d888
	s_mov_b32 s52, s4
	v_add_f64_e32 v[102:103], v[52:53], v[36:37]
	v_add_f64_e64 v[116:117], v[52:53], -v[36:37]
	s_mov_b32 s35, 0xbfe58eea
	v_mul_f64_e32 v[150:151], s[4:5], v[142:143]
	v_mul_f64_e32 v[152:153], s[2:3], v[144:145]
	v_mul_f64_e32 v[0:1], s[12:13], v[142:143]
	v_mul_f64_e32 v[2:3], s[10:11], v[144:145]
	v_mul_f64_e32 v[154:155], s[42:43], v[88:89]
	v_mul_f64_e32 v[156:157], s[16:17], v[86:87]
	v_mul_f64_e32 v[4:5], s[30:31], v[88:89]
	v_mul_f64_e32 v[6:7], s[18:19], v[86:87]
	s_wait_dscnt 0x0
	v_add_f64_e64 v[114:115], v[58:59], -v[46:47]
	v_add_f64_e32 v[104:105], v[58:59], v[46:47]
	s_mov_b32 s29, 0xbfe9895b
	s_mov_b32 s34, s46
	v_mul_f64_e32 v[158:159], s[24:25], v[94:95]
	v_mul_f64_e32 v[160:161], s[20:21], v[90:91]
	;; [unrolled: 1-line block ×4, first 2 shown]
	s_mov_b32 s28, s48
	v_add_f64_e32 v[110:111], v[56:57], v[44:45]
	v_add_f64_e64 v[124:125], v[56:57], -v[44:45]
	s_mov_b32 s40, 0x923c349f
	s_mov_b32 s36, 0xc61f0d01
	;; [unrolled: 1-line block ×10, first 2 shown]
	s_add_nc_u64 s[14:15], s[14:15], s[58:59]
	s_mov_b32 s1, exec_lo
	v_mul_f64_e32 v[162:163], s[48:49], v[106:107]
	v_mul_f64_e32 v[164:165], s[22:23], v[100:101]
	;; [unrolled: 1-line block ×3, first 2 shown]
	s_wait_alu 0xfffe
	v_mul_f64_e32 v[78:79], s[26:27], v[100:101]
	v_fma_f64 v[8:9], v[146:147], s[2:3], -v[150:151]
	v_fma_f64 v[10:11], v[148:149], s[4:5], v[152:153]
	v_fma_f64 v[48:49], v[146:147], s[10:11], v[0:1]
	v_fma_f64 v[50:51], v[148:149], s[38:39], v[2:3]
	v_fma_f64 v[0:1], v[146:147], s[10:11], -v[0:1]
	v_fma_f64 v[2:3], v[148:149], s[12:13], v[2:3]
	v_fma_f64 v[64:65], v[92:93], s[16:17], -v[154:155]
	v_fma_f64 v[66:67], v[96:97], s[42:43], v[156:157]
	v_fma_f64 v[68:69], v[92:93], s[18:19], v[4:5]
	v_fma_f64 v[70:71], v[96:97], s[50:51], v[6:7]
	v_fma_f64 v[4:5], v[92:93], s[18:19], -v[4:5]
	v_fma_f64 v[6:7], v[96:97], s[30:31], v[6:7]
	;; [unrolled: 6-line block ×3, first 2 shown]
	v_mul_f64_e32 v[166:167], s[50:51], v[114:115]
	v_mul_f64_e32 v[170:171], s[18:19], v[104:105]
	v_fma_f64 v[134:135], v[102:103], s[22:23], -v[162:163]
	v_fma_f64 v[136:137], v[116:117], s[48:49], v[164:165]
	v_fma_f64 v[138:139], v[102:103], s[26:27], v[76:77]
	;; [unrolled: 1-line block ×3, first 2 shown]
	v_fma_f64 v[76:77], v[102:103], s[26:27], -v[76:77]
	v_fma_f64 v[78:79], v[116:117], s[46:47], v[78:79]
	v_add_f64_e32 v[8:9], v[16:17], v[8:9]
	v_add_f64_e32 v[10:11], v[18:19], v[10:11]
	v_add_f64_e32 v[72:73], v[16:17], v[48:49]
	v_add_f64_e32 v[74:75], v[18:19], v[50:51]
	v_add_f64_e32 v[0:1], v[16:17], v[0:1]
	v_add_f64_e32 v[2:3], v[18:19], v[2:3]
	ds_load_b128 v[48:51], v182 offset:15488
	v_fma_f64 v[183:184], v[110:111], s[18:19], -v[166:167]
	v_fma_f64 v[185:186], v[124:125], s[50:51], v[170:171]
	v_add_f64_e32 v[8:9], v[64:65], v[8:9]
	v_add_f64_e32 v[10:11], v[66:67], v[10:11]
	ds_load_b128 v[64:67], v182 offset:8448
	v_add_f64_e32 v[72:73], v[68:69], v[72:73]
	v_add_f64_e32 v[74:75], v[70:71], v[74:75]
	;; [unrolled: 1-line block ×4, first 2 shown]
	v_mul_f64_e32 v[4:5], s[28:29], v[114:115]
	v_mul_f64_e32 v[6:7], s[22:23], v[104:105]
	ds_load_b128 v[68:71], v182 offset:9856
	ds_load_b128 v[60:63], v182 offset:14080
	s_wait_dscnt 0x2
	v_add_f64_e64 v[122:123], v[66:67], -v[50:51]
	v_add_f64_e32 v[112:113], v[66:67], v[50:51]
	v_add_f64_e32 v[8:9], v[118:119], v[8:9]
	v_add_f64_e32 v[10:11], v[120:121], v[10:11]
	v_add_f64_e32 v[118:119], v[64:65], v[48:49]
	v_add_f64_e32 v[72:73], v[126:127], v[72:73]
	v_add_f64_e32 v[74:75], v[128:129], v[74:75]
	v_add_f64_e32 v[0:1], v[130:131], v[0:1]
	v_add_f64_e32 v[2:3], v[132:133], v[2:3]
	v_add_f64_e64 v[132:133], v[64:65], -v[48:49]
	s_wait_dscnt 0x0
	v_add_f64_e64 v[130:131], v[70:71], -v[62:63]
	v_add_f64_e32 v[120:121], v[70:71], v[62:63]
	v_fma_f64 v[187:188], v[110:111], s[22:23], v[4:5]
	v_fma_f64 v[189:190], v[124:125], s[48:49], v[6:7]
	v_fma_f64 v[4:5], v[110:111], s[22:23], -v[4:5]
	v_fma_f64 v[6:7], v[124:125], s[28:29], v[6:7]
	v_add_f64_e32 v[126:127], v[68:69], v[60:61]
	v_mul_f64_e32 v[168:169], s[12:13], v[122:123]
	v_mul_f64_e32 v[174:175], s[10:11], v[112:113]
	;; [unrolled: 1-line block ×4, first 2 shown]
	v_add_f64_e32 v[8:9], v[134:135], v[8:9]
	v_add_f64_e32 v[10:11], v[136:137], v[10:11]
	;; [unrolled: 1-line block ×6, first 2 shown]
	ds_load_b128 v[76:79], v182 offset:11264
	ds_load_b128 v[72:75], v182 offset:12672
	v_add_f64_e64 v[138:139], v[68:69], -v[60:61]
	v_mul_f64_e32 v[172:173], s[46:47], v[130:131]
	v_mul_f64_e32 v[178:179], s[26:27], v[120:121]
	;; [unrolled: 1-line block ×4, first 2 shown]
	global_wb scope:SCOPE_SE
	s_wait_dscnt 0x0
	s_barrier_signal -1
	s_barrier_wait -1
	global_inv scope:SCOPE_SE
	v_fma_f64 v[195:196], v[118:119], s[10:11], -v[168:169]
	v_fma_f64 v[197:198], v[132:133], s[12:13], v[174:175]
	v_fma_f64 v[199:200], v[118:119], s[16:17], v[176:177]
	;; [unrolled: 1-line block ×3, first 2 shown]
	v_fma_f64 v[203:204], v[118:119], s[16:17], -v[176:177]
	v_add_f64_e64 v[136:137], v[78:79], -v[74:75]
	v_add_f64_e32 v[128:129], v[78:79], v[74:75]
	v_fma_f64 v[205:206], v[132:133], s[42:43], v[180:181]
	v_add_f64_e32 v[8:9], v[183:184], v[8:9]
	v_add_f64_e32 v[10:11], v[185:186], v[10:11]
	;; [unrolled: 1-line block ×7, first 2 shown]
	v_add_f64_e64 v[140:141], v[76:77], -v[72:73]
	v_fma_f64 v[187:188], v[126:127], s[26:27], -v[172:173]
	v_fma_f64 v[189:190], v[138:139], s[46:47], v[178:179]
	v_fma_f64 v[207:208], v[126:127], s[36:37], v[191:192]
	;; [unrolled: 1-line block ×3, first 2 shown]
	v_fma_f64 v[191:192], v[126:127], s[36:37], -v[191:192]
	v_fma_f64 v[193:194], v[138:139], s[40:41], v[193:194]
	v_mul_f64_e32 v[176:177], s[40:41], v[136:137]
	v_mul_f64_e32 v[180:181], s[36:37], v[128:129]
	;; [unrolled: 1-line block ×4, first 2 shown]
	v_add_f64_e32 v[8:9], v[195:196], v[8:9]
	v_add_f64_e32 v[10:11], v[197:198], v[10:11]
	;; [unrolled: 1-line block ×6, first 2 shown]
	v_fma_f64 v[195:196], v[134:135], s[36:37], -v[176:177]
	v_fma_f64 v[197:198], v[140:141], s[40:41], v[180:181]
	v_fma_f64 v[199:200], v[134:135], s[20:21], v[4:5]
	v_fma_f64 v[201:202], v[140:141], s[24:25], v[6:7]
	v_fma_f64 v[4:5], v[134:135], s[20:21], -v[4:5]
	v_fma_f64 v[6:7], v[140:141], s[56:57], v[6:7]
	v_add_f64_e32 v[8:9], v[187:188], v[8:9]
	v_add_f64_e32 v[10:11], v[189:190], v[10:11]
	;; [unrolled: 1-line block ×12, first 2 shown]
	v_cmpx_gt_u32_e32 0x58, v82
	s_cbranch_execz .LBB0_15
; %bb.14:
	v_add_f64_e32 v[30:31], v[18:19], v[30:31]
	v_add_f64_e32 v[28:29], v[16:17], v[28:29]
	v_mul_f64_e32 v[183:184], s[50:51], v[132:133]
	v_mul_f64_e32 v[185:186], s[50:51], v[122:123]
	;; [unrolled: 1-line block ×8, first 2 shown]
	v_add_f64_e32 v[30:31], v[30:31], v[34:35]
	v_add_f64_e32 v[28:29], v[28:29], v[32:33]
	v_mul_f64_e32 v[34:35], s[50:51], v[148:149]
	v_mul_f64_e32 v[32:33], s[34:35], v[148:149]
	s_delay_alu instid0(VALU_DEP_4) | instskip(NEXT) | instid1(VALU_DEP_4)
	v_add_f64_e32 v[30:31], v[30:31], v[42:43]
	v_add_f64_e32 v[28:29], v[28:29], v[40:41]
	s_delay_alu instid0(VALU_DEP_2) | instskip(NEXT) | instid1(VALU_DEP_2)
	v_add_f64_e32 v[30:31], v[30:31], v[54:55]
	v_add_f64_e32 v[28:29], v[28:29], v[52:53]
	v_mul_f64_e32 v[52:53], s[24:25], v[142:143]
	v_mul_f64_e32 v[54:55], s[44:45], v[142:143]
	s_delay_alu instid0(VALU_DEP_4) | instskip(NEXT) | instid1(VALU_DEP_4)
	v_add_f64_e32 v[30:31], v[30:31], v[58:59]
	v_add_f64_e32 v[28:29], v[28:29], v[56:57]
	v_mul_f64_e32 v[56:57], s[34:35], v[142:143]
	v_mul_f64_e32 v[58:59], s[50:51], v[142:143]
	s_delay_alu instid0(VALU_DEP_4) | instskip(NEXT) | instid1(VALU_DEP_4)
	v_add_f64_e32 v[30:31], v[30:31], v[66:67]
	v_add_f64_e32 v[28:29], v[28:29], v[64:65]
	v_fma_f64 v[64:65], v[146:147], s[20:21], -v[52:53]
	v_fma_f64 v[52:53], v[146:147], s[20:21], v[52:53]
	v_fma_f64 v[66:67], v[146:147], s[16:17], -v[54:55]
	v_fma_f64 v[54:55], v[146:147], s[16:17], v[54:55]
	v_add_f64_e32 v[30:31], v[30:31], v[70:71]
	v_add_f64_e32 v[28:29], v[28:29], v[68:69]
	v_fma_f64 v[68:69], v[146:147], s[26:27], -v[56:57]
	v_fma_f64 v[56:57], v[146:147], s[26:27], v[56:57]
	v_fma_f64 v[70:71], v[146:147], s[18:19], -v[58:59]
	v_fma_f64 v[58:59], v[146:147], s[18:19], v[58:59]
	v_add_f64_e32 v[64:65], v[16:17], v[64:65]
	v_add_f64_e32 v[52:53], v[16:17], v[52:53]
	;; [unrolled: 1-line block ×7, first 2 shown]
	s_delay_alu instid0(VALU_DEP_4) | instskip(NEXT) | instid1(VALU_DEP_4)
	v_add_f64_e32 v[30:31], v[30:31], v[74:75]
	v_add_f64_e32 v[28:29], v[28:29], v[72:73]
	s_delay_alu instid0(VALU_DEP_2) | instskip(NEXT) | instid1(VALU_DEP_2)
	v_add_f64_e32 v[30:31], v[30:31], v[62:63]
	v_add_f64_e32 v[28:29], v[28:29], v[60:61]
	s_delay_alu instid0(VALU_DEP_2) | instskip(NEXT) | instid1(VALU_DEP_2)
	v_add_f64_e32 v[30:31], v[30:31], v[50:51]
	v_add_f64_e32 v[28:29], v[28:29], v[48:49]
	v_mul_f64_e32 v[48:49], s[28:29], v[142:143]
	v_mul_f64_e32 v[50:51], s[40:41], v[142:143]
	s_delay_alu instid0(VALU_DEP_4) | instskip(NEXT) | instid1(VALU_DEP_4)
	v_add_f64_e32 v[30:31], v[30:31], v[46:47]
	v_add_f64_e32 v[28:29], v[28:29], v[44:45]
	v_fma_f64 v[46:47], v[144:145], s[18:19], v[34:35]
	v_fma_f64 v[34:35], v[144:145], s[18:19], -v[34:35]
	v_fma_f64 v[44:45], v[144:145], s[26:27], v[32:33]
	v_fma_f64 v[32:33], v[144:145], s[26:27], -v[32:33]
	v_fma_f64 v[60:61], v[146:147], s[22:23], -v[48:49]
	v_fma_f64 v[48:49], v[146:147], s[22:23], v[48:49]
	v_fma_f64 v[62:63], v[146:147], s[36:37], -v[50:51]
	v_fma_f64 v[50:51], v[146:147], s[36:37], v[50:51]
	v_add_f64_e32 v[30:31], v[30:31], v[38:39]
	v_add_f64_e32 v[28:29], v[28:29], v[36:37]
	;; [unrolled: 1-line block ×4, first 2 shown]
	v_mul_f64_e32 v[32:33], s[24:25], v[108:109]
	v_add_f64_e32 v[60:61], v[16:17], v[60:61]
	v_add_f64_e32 v[48:49], v[16:17], v[48:49]
	;; [unrolled: 1-line block ×6, first 2 shown]
	v_mul_f64_e32 v[28:29], s[24:25], v[148:149]
	v_mul_f64_e32 v[30:31], s[44:45], v[148:149]
	v_add_f64_e64 v[32:33], v[160:161], -v[32:33]
	v_mul_f64_e32 v[160:161], s[42:43], v[138:139]
	v_add_f64_e32 v[22:23], v[26:27], v[22:23]
	v_add_f64_e32 v[20:21], v[24:25], v[20:21]
	v_mul_f64_e32 v[24:25], s[28:29], v[148:149]
	v_mul_f64_e32 v[26:27], s[40:41], v[148:149]
	v_fma_f64 v[40:41], v[144:145], s[20:21], v[28:29]
	v_fma_f64 v[28:29], v[144:145], s[20:21], -v[28:29]
	v_fma_f64 v[42:43], v[144:145], s[16:17], v[30:31]
	v_fma_f64 v[30:31], v[144:145], s[16:17], -v[30:31]
	v_add_f64_e32 v[14:15], v[22:23], v[14:15]
	v_add_f64_e32 v[12:13], v[20:21], v[12:13]
	v_mul_f64_e32 v[20:21], s[4:5], v[148:149]
	v_mul_f64_e32 v[22:23], s[2:3], v[146:147]
	v_fma_f64 v[36:37], v[144:145], s[22:23], v[24:25]
	v_fma_f64 v[24:25], v[144:145], s[22:23], -v[24:25]
	v_fma_f64 v[38:39], v[144:145], s[36:37], v[26:27]
	v_fma_f64 v[26:27], v[144:145], s[36:37], -v[26:27]
	v_add_f64_e32 v[144:145], v[18:19], v[46:47]
	v_add_f64_e32 v[146:147], v[18:19], v[34:35]
	v_mul_f64_e32 v[34:35], s[42:43], v[96:97]
	v_mul_f64_e32 v[46:47], s[16:17], v[92:93]
	v_add_f64_e32 v[78:79], v[18:19], v[42:43]
	v_add_f64_e32 v[42:43], v[16:17], v[54:55]
	;; [unrolled: 1-line block ×3, first 2 shown]
	v_mul_f64_e32 v[56:57], s[20:21], v[98:99]
	v_add_f64_e32 v[74:75], v[18:19], v[40:41]
	v_add_f64_e32 v[40:41], v[18:19], v[30:31]
	v_mul_f64_e32 v[30:31], s[48:49], v[116:117]
	v_add_f64_e32 v[76:77], v[18:19], v[28:29]
	v_mul_f64_e32 v[28:29], s[50:51], v[124:125]
	v_add_f64_e32 v[148:149], v[16:17], v[58:59]
	v_add_f64_e64 v[20:21], v[152:153], -v[20:21]
	v_add_f64_e32 v[22:23], v[22:23], v[150:151]
	v_add_f64_e32 v[36:37], v[18:19], v[36:37]
	;; [unrolled: 1-line block ×5, first 2 shown]
	v_mul_f64_e32 v[26:27], s[12:13], v[132:133]
	v_add_f64_e64 v[34:35], v[156:157], -v[34:35]
	v_add_f64_e32 v[46:47], v[46:47], v[154:155]
	v_mul_f64_e32 v[156:157], s[42:43], v[140:141]
	v_add_f64_e32 v[56:57], v[56:57], v[158:159]
	v_mul_f64_e32 v[158:159], s[42:43], v[136:137]
	v_add_f64_e64 v[30:31], v[164:165], -v[30:31]
	v_mul_f64_e32 v[164:165], s[30:31], v[140:141]
	v_add_f64_e64 v[28:29], v[170:171], -v[28:29]
	v_mul_f64_e32 v[170:171], s[38:39], v[108:109]
	v_add_f64_e32 v[20:21], v[18:19], v[20:21]
	v_add_f64_e32 v[22:23], v[16:17], v[22:23]
	v_mul_f64_e32 v[18:19], s[46:47], v[138:139]
	v_mul_f64_e32 v[16:17], s[40:41], v[140:141]
	v_add_f64_e64 v[26:27], v[174:175], -v[26:27]
	v_mul_f64_e32 v[174:175], s[54:55], v[116:117]
	v_add_f64_e32 v[20:21], v[34:35], v[20:21]
	v_add_f64_e32 v[22:23], v[46:47], v[22:23]
	v_mul_f64_e32 v[34:35], s[22:23], v[102:103]
	v_add_f64_e64 v[18:19], v[178:179], -v[18:19]
	v_add_f64_e64 v[16:17], v[180:181], -v[16:17]
	v_mul_f64_e32 v[178:179], s[46:47], v[124:125]
	v_mul_f64_e32 v[180:181], s[46:47], v[114:115]
	v_add_f64_e32 v[20:21], v[32:33], v[20:21]
	v_add_f64_e32 v[22:23], v[56:57], v[22:23]
	;; [unrolled: 1-line block ×3, first 2 shown]
	v_mul_f64_e32 v[32:33], s[18:19], v[110:111]
	v_mul_f64_e32 v[162:163], s[42:43], v[130:131]
	v_add_f64_e32 v[20:21], v[30:31], v[20:21]
	v_mul_f64_e32 v[30:31], s[10:11], v[118:119]
	v_add_f64_e32 v[22:23], v[34:35], v[22:23]
	v_add_f64_e32 v[32:33], v[32:33], v[166:167]
	v_mul_f64_e32 v[166:167], s[30:31], v[136:137]
	v_add_f64_e32 v[20:21], v[28:29], v[20:21]
	;; [unrolled: 3-line block ×3, first 2 shown]
	v_mul_f64_e32 v[168:169], s[28:29], v[88:89]
	v_add_f64_e32 v[20:21], v[26:27], v[20:21]
	v_mul_f64_e32 v[26:27], s[36:37], v[134:135]
	v_add_f64_e32 v[28:29], v[28:29], v[172:173]
	v_add_f64_e32 v[22:23], v[30:31], v[22:23]
	v_mul_f64_e32 v[30:31], s[50:51], v[108:109]
	v_mul_f64_e32 v[172:173], s[38:39], v[94:95]
	v_add_f64_e32 v[18:19], v[18:19], v[20:21]
	v_add_f64_e32 v[26:27], v[26:27], v[176:177]
	v_mul_f64_e32 v[176:177], s[54:55], v[106:107]
	v_add_f64_e32 v[20:21], v[28:29], v[22:23]
	v_mul_f64_e32 v[28:29], s[54:55], v[88:89]
	v_fma_f64 v[32:33], v[90:91], s[18:19], v[30:31]
	v_add_f64_e32 v[18:19], v[16:17], v[18:19]
	s_delay_alu instid0(VALU_DEP_4) | instskip(SKIP_2) | instid1(VALU_DEP_2)
	v_add_f64_e32 v[16:17], v[26:27], v[20:21]
	v_mul_f64_e32 v[26:27], s[54:55], v[96:97]
	v_fma_f64 v[22:23], v[92:93], s[36:37], -v[28:29]
	v_fma_f64 v[20:21], v[86:87], s[36:37], v[26:27]
	s_delay_alu instid0(VALU_DEP_2) | instskip(SKIP_1) | instid1(VALU_DEP_3)
	v_add_f64_e32 v[22:23], v[22:23], v[60:61]
	v_fma_f64 v[26:27], v[86:87], s[36:37], -v[26:27]
	v_add_f64_e32 v[20:21], v[20:21], v[36:37]
	s_delay_alu instid0(VALU_DEP_2)
	v_add_f64_e32 v[24:25], v[26:27], v[24:25]
	v_fma_f64 v[26:27], v[92:93], s[36:37], v[28:29]
	v_fma_f64 v[28:29], v[90:91], s[18:19], -v[30:31]
	v_fma_f64 v[30:31], v[134:135], s[16:17], v[158:159]
	v_add_f64_e32 v[20:21], v[32:33], v[20:21]
	v_mul_f64_e32 v[32:33], s[50:51], v[94:95]
	v_add_f64_e32 v[26:27], v[26:27], v[48:49]
	v_add_f64_e32 v[24:25], v[28:29], v[24:25]
	s_delay_alu instid0(VALU_DEP_3) | instskip(SKIP_2) | instid1(VALU_DEP_3)
	v_fma_f64 v[34:35], v[98:99], s[18:19], -v[32:33]
	v_fma_f64 v[28:29], v[98:99], s[18:19], v[32:33]
	v_mul_f64_e32 v[32:33], s[52:53], v[96:97]
	v_add_f64_e32 v[22:23], v[34:35], v[22:23]
	v_mul_f64_e32 v[34:35], s[4:5], v[116:117]
	s_delay_alu instid0(VALU_DEP_4) | instskip(NEXT) | instid1(VALU_DEP_2)
	v_add_f64_e32 v[26:27], v[28:29], v[26:27]
	v_fma_f64 v[36:37], v[100:101], s[2:3], v[34:35]
	v_fma_f64 v[28:29], v[100:101], s[2:3], -v[34:35]
	v_mul_f64_e32 v[34:35], s[52:53], v[88:89]
	s_delay_alu instid0(VALU_DEP_3) | instskip(SKIP_1) | instid1(VALU_DEP_4)
	v_add_f64_e32 v[20:21], v[36:37], v[20:21]
	v_mul_f64_e32 v[36:37], s[4:5], v[106:107]
	v_add_f64_e32 v[24:25], v[28:29], v[24:25]
	s_delay_alu instid0(VALU_DEP_2) | instskip(SKIP_2) | instid1(VALU_DEP_3)
	v_fma_f64 v[46:47], v[102:103], s[2:3], -v[36:37]
	v_fma_f64 v[28:29], v[102:103], s[2:3], v[36:37]
	v_mul_f64_e32 v[36:37], s[46:47], v[108:109]
	v_add_f64_e32 v[22:23], v[46:47], v[22:23]
	v_mul_f64_e32 v[46:47], s[56:57], v[124:125]
	s_delay_alu instid0(VALU_DEP_4) | instskip(NEXT) | instid1(VALU_DEP_2)
	v_add_f64_e32 v[26:27], v[28:29], v[26:27]
	v_fma_f64 v[56:57], v[104:105], s[20:21], v[46:47]
	v_fma_f64 v[28:29], v[104:105], s[20:21], -v[46:47]
	s_delay_alu instid0(VALU_DEP_2) | instskip(SKIP_1) | instid1(VALU_DEP_3)
	v_add_f64_e32 v[20:21], v[56:57], v[20:21]
	v_mul_f64_e32 v[56:57], s[56:57], v[114:115]
	v_add_f64_e32 v[24:25], v[28:29], v[24:25]
	s_delay_alu instid0(VALU_DEP_2) | instskip(SKIP_1) | instid1(VALU_DEP_2)
	v_fma_f64 v[58:59], v[110:111], s[20:21], -v[56:57]
	v_fma_f64 v[28:29], v[110:111], s[20:21], v[56:57]
	v_add_f64_e32 v[22:23], v[58:59], v[22:23]
	v_mul_f64_e32 v[58:59], s[34:35], v[132:133]
	s_delay_alu instid0(VALU_DEP_3) | instskip(NEXT) | instid1(VALU_DEP_2)
	v_add_f64_e32 v[26:27], v[28:29], v[26:27]
	v_fma_f64 v[60:61], v[112:113], s[26:27], v[58:59]
	v_fma_f64 v[28:29], v[112:113], s[26:27], -v[58:59]
	s_delay_alu instid0(VALU_DEP_2) | instskip(SKIP_1) | instid1(VALU_DEP_3)
	v_add_f64_e32 v[20:21], v[60:61], v[20:21]
	v_mul_f64_e32 v[60:61], s[34:35], v[122:123]
	v_add_f64_e32 v[24:25], v[28:29], v[24:25]
	s_delay_alu instid0(VALU_DEP_2) | instskip(SKIP_1) | instid1(VALU_DEP_2)
	v_fma_f64 v[150:151], v[118:119], s[26:27], -v[60:61]
	v_fma_f64 v[28:29], v[118:119], s[26:27], v[60:61]
	v_add_f64_e32 v[22:23], v[150:151], v[22:23]
	v_mul_f64_e32 v[150:151], s[12:13], v[138:139]
	s_delay_alu instid0(VALU_DEP_3) | instskip(NEXT) | instid1(VALU_DEP_2)
	v_add_f64_e32 v[26:27], v[28:29], v[26:27]
	v_fma_f64 v[152:153], v[120:121], s[10:11], v[150:151]
	v_fma_f64 v[28:29], v[120:121], s[10:11], -v[150:151]
	s_delay_alu instid0(VALU_DEP_2) | instskip(SKIP_1) | instid1(VALU_DEP_3)
	v_add_f64_e32 v[20:21], v[152:153], v[20:21]
	v_mul_f64_e32 v[152:153], s[12:13], v[130:131]
	v_add_f64_e32 v[24:25], v[28:29], v[24:25]
	s_delay_alu instid0(VALU_DEP_2) | instskip(SKIP_1) | instid1(VALU_DEP_2)
	v_fma_f64 v[28:29], v[126:127], s[10:11], v[152:153]
	v_fma_f64 v[154:155], v[126:127], s[10:11], -v[152:153]
	v_add_f64_e32 v[28:29], v[28:29], v[26:27]
	v_fma_f64 v[26:27], v[128:129], s[16:17], -v[156:157]
	s_delay_alu instid0(VALU_DEP_3) | instskip(SKIP_2) | instid1(VALU_DEP_4)
	v_add_f64_e32 v[154:155], v[154:155], v[22:23]
	v_fma_f64 v[22:23], v[128:129], s[16:17], v[156:157]
	v_mul_f64_e32 v[156:157], s[28:29], v[140:141]
	v_add_f64_e32 v[26:27], v[26:27], v[24:25]
	v_add_f64_e32 v[24:25], v[30:31], v[28:29]
	v_fma_f64 v[28:29], v[86:87], s[2:3], v[32:33]
	v_fma_f64 v[30:31], v[92:93], s[2:3], -v[34:35]
	v_fma_f64 v[32:33], v[86:87], s[2:3], -v[32:33]
	v_fma_f64 v[34:35], v[92:93], s[2:3], v[34:35]
	v_add_f64_e32 v[22:23], v[22:23], v[20:21]
	v_fma_f64 v[20:21], v[134:135], s[16:17], -v[158:159]
	v_mul_f64_e32 v[158:159], s[28:29], v[136:137]
	v_add_f64_e32 v[28:29], v[28:29], v[38:39]
	v_fma_f64 v[38:39], v[90:91], s[26:27], v[36:37]
	v_add_f64_e32 v[30:31], v[30:31], v[62:63]
	v_add_f64_e32 v[32:33], v[32:33], v[72:73]
	v_fma_f64 v[36:37], v[90:91], s[26:27], -v[36:37]
	v_add_f64_e32 v[34:35], v[34:35], v[50:51]
	v_add_f64_e32 v[20:21], v[20:21], v[154:155]
	v_mul_f64_e32 v[72:73], s[12:13], v[116:117]
	v_mul_f64_e32 v[50:51], s[12:13], v[88:89]
	v_add_f64_e32 v[28:29], v[38:39], v[28:29]
	v_mul_f64_e32 v[38:39], s[46:47], v[94:95]
	v_add_f64_e32 v[32:33], v[36:37], v[32:33]
	s_delay_alu instid0(VALU_DEP_2) | instskip(SKIP_2) | instid1(VALU_DEP_3)
	v_fma_f64 v[46:47], v[98:99], s[26:27], -v[38:39]
	v_fma_f64 v[36:37], v[98:99], s[26:27], v[38:39]
	v_fma_f64 v[38:39], v[134:135], s[22:23], v[158:159]
	v_add_f64_e32 v[30:31], v[46:47], v[30:31]
	v_mul_f64_e32 v[46:47], s[44:45], v[116:117]
	s_delay_alu instid0(VALU_DEP_4) | instskip(NEXT) | instid1(VALU_DEP_2)
	v_add_f64_e32 v[34:35], v[36:37], v[34:35]
	v_fma_f64 v[48:49], v[100:101], s[16:17], v[46:47]
	v_fma_f64 v[36:37], v[100:101], s[16:17], -v[46:47]
	v_fma_f64 v[46:47], v[92:93], s[10:11], v[50:51]
	v_fma_f64 v[50:51], v[92:93], s[10:11], -v[50:51]
	s_delay_alu instid0(VALU_DEP_4)
	v_add_f64_e32 v[28:29], v[48:49], v[28:29]
	v_mul_f64_e32 v[48:49], s[44:45], v[106:107]
	v_add_f64_e32 v[32:33], v[36:37], v[32:33]
	v_add_f64_e32 v[46:47], v[46:47], v[52:53]
	v_mul_f64_e32 v[52:53], s[54:55], v[108:109]
	v_add_f64_e32 v[50:51], v[50:51], v[64:65]
	v_fma_f64 v[64:65], v[134:135], s[26:27], -v[215:216]
	v_fma_f64 v[56:57], v[102:103], s[16:17], -v[48:49]
	v_fma_f64 v[36:37], v[102:103], s[16:17], v[48:49]
	v_mul_f64_e32 v[48:49], s[12:13], v[96:97]
	s_delay_alu instid0(VALU_DEP_3) | instskip(SKIP_1) | instid1(VALU_DEP_4)
	v_add_f64_e32 v[30:31], v[56:57], v[30:31]
	v_mul_f64_e32 v[56:57], s[12:13], v[124:125]
	v_add_f64_e32 v[34:35], v[36:37], v[34:35]
	s_delay_alu instid0(VALU_DEP_2) | instskip(SKIP_2) | instid1(VALU_DEP_3)
	v_fma_f64 v[58:59], v[104:105], s[10:11], v[56:57]
	v_fma_f64 v[36:37], v[104:105], s[10:11], -v[56:57]
	v_mul_f64_e32 v[56:57], s[24:25], v[96:97]
	v_add_f64_e32 v[28:29], v[58:59], v[28:29]
	v_mul_f64_e32 v[58:59], s[12:13], v[114:115]
	s_delay_alu instid0(VALU_DEP_4) | instskip(NEXT) | instid1(VALU_DEP_2)
	v_add_f64_e32 v[32:33], v[36:37], v[32:33]
	v_fma_f64 v[60:61], v[110:111], s[10:11], -v[58:59]
	v_fma_f64 v[36:37], v[110:111], s[10:11], v[58:59]
	v_mul_f64_e32 v[58:59], s[24:25], v[88:89]
	s_delay_alu instid0(VALU_DEP_3) | instskip(SKIP_1) | instid1(VALU_DEP_4)
	v_add_f64_e32 v[30:31], v[60:61], v[30:31]
	v_mul_f64_e32 v[60:61], s[56:57], v[132:133]
	v_add_f64_e32 v[34:35], v[36:37], v[34:35]
	s_delay_alu instid0(VALU_DEP_2) | instskip(SKIP_2) | instid1(VALU_DEP_3)
	v_fma_f64 v[62:63], v[112:113], s[20:21], v[60:61]
	v_fma_f64 v[36:37], v[112:113], s[20:21], -v[60:61]
	v_mul_f64_e32 v[60:61], s[28:29], v[108:109]
	v_add_f64_e32 v[28:29], v[62:63], v[28:29]
	v_mul_f64_e32 v[62:63], s[56:57], v[122:123]
	s_delay_alu instid0(VALU_DEP_4) | instskip(NEXT) | instid1(VALU_DEP_2)
	v_add_f64_e32 v[32:33], v[36:37], v[32:33]
	;; [unrolled: 15-line block ×3, first 2 shown]
	v_fma_f64 v[36:37], v[126:127], s[18:19], v[152:153]
	v_fma_f64 v[154:155], v[126:127], s[18:19], -v[152:153]
	v_mul_f64_e32 v[152:153], s[52:53], v[124:125]
	s_delay_alu instid0(VALU_DEP_3) | instskip(SKIP_1) | instid1(VALU_DEP_4)
	v_add_f64_e32 v[36:37], v[36:37], v[34:35]
	v_fma_f64 v[34:35], v[128:129], s[22:23], -v[156:157]
	v_add_f64_e32 v[154:155], v[154:155], v[30:31]
	v_fma_f64 v[30:31], v[128:129], s[22:23], v[156:157]
	v_mul_f64_e32 v[156:157], s[54:55], v[132:133]
	s_delay_alu instid0(VALU_DEP_4)
	v_add_f64_e32 v[34:35], v[34:35], v[32:33]
	v_add_f64_e32 v[32:33], v[38:39], v[36:37]
	v_fma_f64 v[36:37], v[86:87], s[20:21], -v[56:57]
	v_fma_f64 v[38:39], v[92:93], s[20:21], v[58:59]
	v_add_f64_e32 v[30:31], v[30:31], v[28:29]
	v_fma_f64 v[28:29], v[134:135], s[22:23], -v[158:159]
	v_mul_f64_e32 v[158:159], s[54:55], v[122:123]
	v_fma_f64 v[56:57], v[86:87], s[20:21], v[56:57]
	v_fma_f64 v[58:59], v[92:93], s[20:21], -v[58:59]
	v_add_f64_e32 v[36:37], v[36:37], v[44:45]
	v_fma_f64 v[44:45], v[90:91], s[22:23], -v[60:61]
	v_add_f64_e32 v[38:39], v[38:39], v[54:55]
	v_add_f64_e32 v[28:29], v[28:29], v[154:155]
	v_mul_f64_e32 v[154:155], s[52:53], v[114:115]
	v_mul_f64_e32 v[54:55], s[28:29], v[96:97]
	v_add_f64_e32 v[56:57], v[56:57], v[142:143]
	v_fma_f64 v[60:61], v[90:91], s[22:23], v[60:61]
	v_add_f64_e32 v[58:59], v[58:59], v[68:69]
	v_mul_f64_e32 v[68:69], s[44:45], v[108:109]
	v_add_f64_e32 v[36:37], v[44:45], v[36:37]
	v_fma_f64 v[44:45], v[98:99], s[22:23], v[62:63]
	v_add_f64_e32 v[56:57], v[60:61], v[56:57]
	v_fma_f64 v[60:61], v[98:99], s[22:23], -v[62:63]
	v_fma_f64 v[62:63], v[134:135], s[18:19], -v[166:167]
	s_delay_alu instid0(VALU_DEP_4) | instskip(SKIP_1) | instid1(VALU_DEP_4)
	v_add_f64_e32 v[38:39], v[44:45], v[38:39]
	v_fma_f64 v[44:45], v[100:101], s[10:11], -v[72:73]
	v_add_f64_e32 v[58:59], v[60:61], v[58:59]
	v_fma_f64 v[60:61], v[100:101], s[10:11], v[72:73]
	v_fma_f64 v[72:73], v[90:91], s[16:17], -v[68:69]
	v_fma_f64 v[68:69], v[90:91], s[16:17], v[68:69]
	v_add_f64_e32 v[36:37], v[44:45], v[36:37]
	v_fma_f64 v[44:45], v[102:103], s[10:11], v[150:151]
	v_add_f64_e32 v[56:57], v[60:61], v[56:57]
	v_fma_f64 v[60:61], v[102:103], s[10:11], -v[150:151]
	s_delay_alu instid0(VALU_DEP_3) | instskip(SKIP_1) | instid1(VALU_DEP_3)
	v_add_f64_e32 v[38:39], v[44:45], v[38:39]
	v_fma_f64 v[44:45], v[104:105], s[2:3], -v[152:153]
	v_add_f64_e32 v[58:59], v[60:61], v[58:59]
	v_fma_f64 v[60:61], v[104:105], s[2:3], v[152:153]
	s_delay_alu instid0(VALU_DEP_3) | instskip(SKIP_1) | instid1(VALU_DEP_3)
	v_add_f64_e32 v[36:37], v[44:45], v[36:37]
	v_fma_f64 v[44:45], v[110:111], s[2:3], v[154:155]
	v_add_f64_e32 v[56:57], v[60:61], v[56:57]
	v_fma_f64 v[60:61], v[110:111], s[2:3], -v[154:155]
	s_delay_alu instid0(VALU_DEP_3) | instskip(SKIP_1) | instid1(VALU_DEP_3)
	v_add_f64_e32 v[38:39], v[44:45], v[38:39]
	v_fma_f64 v[44:45], v[112:113], s[36:37], -v[156:157]
	v_add_f64_e32 v[58:59], v[60:61], v[58:59]
	v_fma_f64 v[60:61], v[112:113], s[36:37], v[156:157]
	s_delay_alu instid0(VALU_DEP_3) | instskip(SKIP_1) | instid1(VALU_DEP_3)
	;; [unrolled: 10-line block ×4, first 2 shown]
	v_add_f64_e32 v[38:39], v[38:39], v[36:37]
	v_fma_f64 v[36:37], v[134:135], s[18:19], v[166:167]
	v_add_f64_e32 v[58:59], v[58:59], v[56:57]
	v_add_f64_e32 v[56:57], v[62:63], v[60:61]
	s_delay_alu instid0(VALU_DEP_3) | instskip(SKIP_1) | instid1(VALU_DEP_1)
	v_add_f64_e32 v[36:37], v[36:37], v[44:45]
	v_fma_f64 v[44:45], v[86:87], s[22:23], -v[54:55]
	v_add_f64_e32 v[40:41], v[44:45], v[40:41]
	v_fma_f64 v[44:45], v[92:93], s[22:23], v[168:169]
	s_delay_alu instid0(VALU_DEP_1) | instskip(SKIP_1) | instid1(VALU_DEP_1)
	v_add_f64_e32 v[42:43], v[44:45], v[42:43]
	v_fma_f64 v[44:45], v[90:91], s[10:11], -v[170:171]
	v_add_f64_e32 v[40:41], v[44:45], v[40:41]
	v_fma_f64 v[44:45], v[98:99], s[10:11], v[172:173]
	s_delay_alu instid0(VALU_DEP_1) | instskip(SKIP_1) | instid1(VALU_DEP_1)
	;; [unrolled: 5-line block ×6, first 2 shown]
	v_add_f64_e32 v[44:45], v[44:45], v[42:43]
	v_fma_f64 v[42:43], v[128:129], s[2:3], -v[191:192]
	v_add_f64_e32 v[42:43], v[42:43], v[40:41]
	v_fma_f64 v[40:41], v[134:135], s[2:3], v[193:194]
	s_delay_alu instid0(VALU_DEP_1) | instskip(SKIP_2) | instid1(VALU_DEP_2)
	v_add_f64_e32 v[40:41], v[40:41], v[44:45]
	v_fma_f64 v[44:45], v[86:87], s[10:11], -v[48:49]
	v_fma_f64 v[48:49], v[86:87], s[10:11], v[48:49]
	v_add_f64_e32 v[44:45], v[44:45], v[76:77]
	v_fma_f64 v[76:77], v[90:91], s[36:37], -v[52:53]
	s_delay_alu instid0(VALU_DEP_3) | instskip(SKIP_1) | instid1(VALU_DEP_3)
	v_add_f64_e32 v[48:49], v[48:49], v[74:75]
	v_fma_f64 v[52:53], v[90:91], s[36:37], v[52:53]
	v_add_f64_e32 v[44:45], v[76:77], v[44:45]
	v_mul_f64_e32 v[76:77], s[54:55], v[94:95]
	s_delay_alu instid0(VALU_DEP_3) | instskip(NEXT) | instid1(VALU_DEP_2)
	v_add_f64_e32 v[48:49], v[52:53], v[48:49]
	v_fma_f64 v[195:196], v[98:99], s[36:37], v[76:77]
	v_fma_f64 v[52:53], v[98:99], s[36:37], -v[76:77]
	s_delay_alu instid0(VALU_DEP_2) | instskip(SKIP_1) | instid1(VALU_DEP_3)
	v_add_f64_e32 v[46:47], v[195:196], v[46:47]
	v_mul_f64_e32 v[195:196], s[30:31], v[116:117]
	v_add_f64_e32 v[50:51], v[52:53], v[50:51]
	s_delay_alu instid0(VALU_DEP_2) | instskip(SKIP_1) | instid1(VALU_DEP_2)
	v_fma_f64 v[197:198], v[100:101], s[18:19], -v[195:196]
	v_fma_f64 v[52:53], v[100:101], s[18:19], v[195:196]
	v_add_f64_e32 v[44:45], v[197:198], v[44:45]
	v_mul_f64_e32 v[197:198], s[30:31], v[106:107]
	s_delay_alu instid0(VALU_DEP_3) | instskip(NEXT) | instid1(VALU_DEP_2)
	v_add_f64_e32 v[48:49], v[52:53], v[48:49]
	v_fma_f64 v[199:200], v[102:103], s[18:19], v[197:198]
	v_fma_f64 v[52:53], v[102:103], s[18:19], -v[197:198]
	s_delay_alu instid0(VALU_DEP_2) | instskip(SKIP_1) | instid1(VALU_DEP_3)
	v_add_f64_e32 v[46:47], v[199:200], v[46:47]
	v_mul_f64_e32 v[199:200], s[44:45], v[124:125]
	v_add_f64_e32 v[50:51], v[52:53], v[50:51]
	s_delay_alu instid0(VALU_DEP_2) | instskip(SKIP_1) | instid1(VALU_DEP_2)
	v_fma_f64 v[201:202], v[104:105], s[16:17], -v[199:200]
	;; [unrolled: 13-line block ×4, first 2 shown]
	v_fma_f64 v[52:53], v[120:121], s[22:23], v[207:208]
	v_add_f64_e32 v[44:45], v[209:210], v[44:45]
	v_mul_f64_e32 v[209:210], s[48:49], v[130:131]
	s_delay_alu instid0(VALU_DEP_3) | instskip(NEXT) | instid1(VALU_DEP_2)
	v_add_f64_e32 v[48:49], v[52:53], v[48:49]
	v_fma_f64 v[52:53], v[126:127], s[22:23], -v[209:210]
	v_fma_f64 v[211:212], v[126:127], s[22:23], v[209:210]
	s_delay_alu instid0(VALU_DEP_2) | instskip(SKIP_1) | instid1(VALU_DEP_3)
	v_add_f64_e32 v[52:53], v[52:53], v[50:51]
	v_fma_f64 v[50:51], v[128:129], s[26:27], v[213:214]
	v_add_f64_e32 v[211:212], v[211:212], v[46:47]
	v_fma_f64 v[46:47], v[128:129], s[26:27], -v[213:214]
	s_delay_alu instid0(VALU_DEP_3)
	v_add_f64_e32 v[50:51], v[50:51], v[48:49]
	v_add_f64_e32 v[48:49], v[64:65], v[52:53]
	v_fma_f64 v[52:53], v[86:87], s[22:23], v[54:55]
	v_fma_f64 v[54:55], v[92:93], s[22:23], -v[168:169]
	v_fma_f64 v[64:65], v[90:91], s[10:11], v[170:171]
	v_add_f64_e32 v[46:47], v[46:47], v[44:45]
	v_fma_f64 v[44:45], v[134:135], s[26:27], v[215:216]
	v_add_f64_e32 v[52:53], v[52:53], v[78:79]
	v_add_f64_e32 v[54:55], v[54:55], v[66:67]
	v_fma_f64 v[66:67], v[134:135], s[2:3], -v[193:194]
	s_delay_alu instid0(VALU_DEP_4) | instskip(NEXT) | instid1(VALU_DEP_4)
	v_add_f64_e32 v[44:45], v[44:45], v[211:212]
	v_add_f64_e32 v[52:53], v[64:65], v[52:53]
	v_fma_f64 v[64:65], v[98:99], s[10:11], -v[172:173]
	s_delay_alu instid0(VALU_DEP_1) | instskip(SKIP_1) | instid1(VALU_DEP_1)
	v_add_f64_e32 v[54:55], v[64:65], v[54:55]
	v_fma_f64 v[64:65], v[100:101], s[36:37], v[174:175]
	v_add_f64_e32 v[52:53], v[64:65], v[52:53]
	v_fma_f64 v[64:65], v[102:103], s[36:37], -v[176:177]
	s_delay_alu instid0(VALU_DEP_1) | instskip(SKIP_1) | instid1(VALU_DEP_1)
	v_add_f64_e32 v[54:55], v[64:65], v[54:55]
	v_fma_f64 v[64:65], v[104:105], s[26:27], v[178:179]
	v_add_f64_e32 v[52:53], v[64:65], v[52:53]
	v_fma_f64 v[64:65], v[110:111], s[26:27], -v[180:181]
	s_delay_alu instid0(VALU_DEP_1) | instskip(SKIP_1) | instid1(VALU_DEP_1)
	v_add_f64_e32 v[54:55], v[64:65], v[54:55]
	v_fma_f64 v[64:65], v[112:113], s[18:19], v[183:184]
	v_add_f64_e32 v[52:53], v[64:65], v[52:53]
	v_fma_f64 v[64:65], v[118:119], s[18:19], -v[185:186]
	s_delay_alu instid0(VALU_DEP_1) | instskip(SKIP_1) | instid1(VALU_DEP_1)
	v_add_f64_e32 v[54:55], v[64:65], v[54:55]
	v_fma_f64 v[64:65], v[120:121], s[20:21], v[187:188]
	v_add_f64_e32 v[52:53], v[64:65], v[52:53]
	v_fma_f64 v[64:65], v[126:127], s[20:21], -v[189:190]
	s_delay_alu instid0(VALU_DEP_1) | instskip(SKIP_1) | instid1(VALU_DEP_1)
	v_add_f64_e32 v[64:65], v[64:65], v[54:55]
	v_fma_f64 v[54:55], v[128:129], s[2:3], v[191:192]
	v_add_f64_e32 v[54:55], v[54:55], v[52:53]
	s_delay_alu instid0(VALU_DEP_3) | instskip(SKIP_2) | instid1(VALU_DEP_2)
	v_add_f64_e32 v[52:53], v[66:67], v[64:65]
	v_mul_f64_e32 v[64:65], s[34:35], v[96:97]
	v_mul_f64_e32 v[66:67], s[34:35], v[88:89]
	v_fma_f64 v[60:61], v[86:87], s[26:27], -v[64:65]
	s_delay_alu instid0(VALU_DEP_2) | instskip(SKIP_2) | instid1(VALU_DEP_4)
	v_fma_f64 v[62:63], v[92:93], s[26:27], v[66:67]
	v_fma_f64 v[64:65], v[86:87], s[26:27], v[64:65]
	v_fma_f64 v[66:67], v[92:93], s[26:27], -v[66:67]
	v_add_f64_e32 v[60:61], v[60:61], v[146:147]
	s_delay_alu instid0(VALU_DEP_4) | instskip(NEXT) | instid1(VALU_DEP_4)
	v_add_f64_e32 v[62:63], v[62:63], v[148:149]
	v_add_f64_e32 v[64:65], v[64:65], v[144:145]
	s_delay_alu instid0(VALU_DEP_4) | instskip(NEXT) | instid1(VALU_DEP_4)
	v_add_f64_e32 v[66:67], v[66:67], v[70:71]
	v_add_f64_e32 v[60:61], v[72:73], v[60:61]
	v_mul_f64_e32 v[72:73], s[44:45], v[94:95]
	s_delay_alu instid0(VALU_DEP_4) | instskip(NEXT) | instid1(VALU_DEP_2)
	v_add_f64_e32 v[64:65], v[68:69], v[64:65]
	v_fma_f64 v[74:75], v[98:99], s[16:17], v[72:73]
	v_fma_f64 v[72:73], v[98:99], s[16:17], -v[72:73]
	s_delay_alu instid0(VALU_DEP_2) | instskip(SKIP_1) | instid1(VALU_DEP_3)
	v_add_f64_e32 v[62:63], v[74:75], v[62:63]
	v_mul_f64_e32 v[74:75], s[24:25], v[116:117]
	v_add_f64_e32 v[66:67], v[72:73], v[66:67]
	v_mul_f64_e32 v[116:117], s[12:13], v[140:141]
	s_delay_alu instid0(VALU_DEP_3) | instskip(SKIP_1) | instid1(VALU_DEP_2)
	v_fma_f64 v[76:77], v[100:101], s[20:21], -v[74:75]
	v_fma_f64 v[70:71], v[100:101], s[20:21], v[74:75]
	v_add_f64_e32 v[60:61], v[76:77], v[60:61]
	v_mul_f64_e32 v[76:77], s[24:25], v[106:107]
	s_delay_alu instid0(VALU_DEP_3) | instskip(NEXT) | instid1(VALU_DEP_2)
	v_add_f64_e32 v[64:65], v[70:71], v[64:65]
	v_fma_f64 v[78:79], v[102:103], s[20:21], v[76:77]
	v_fma_f64 v[74:75], v[102:103], s[20:21], -v[76:77]
	s_delay_alu instid0(VALU_DEP_2) | instskip(SKIP_1) | instid1(VALU_DEP_3)
	v_add_f64_e32 v[62:63], v[78:79], v[62:63]
	v_mul_f64_e32 v[78:79], s[40:41], v[124:125]
	v_add_f64_e32 v[66:67], v[74:75], v[66:67]
	s_delay_alu instid0(VALU_DEP_2) | instskip(SKIP_1) | instid1(VALU_DEP_2)
	v_fma_f64 v[88:89], v[104:105], s[36:37], -v[78:79]
	v_fma_f64 v[68:69], v[104:105], s[36:37], v[78:79]
	v_add_f64_e32 v[60:61], v[88:89], v[60:61]
	v_mul_f64_e32 v[88:89], s[40:41], v[114:115]
	s_delay_alu instid0(VALU_DEP_3) | instskip(NEXT) | instid1(VALU_DEP_2)
	v_add_f64_e32 v[64:65], v[68:69], v[64:65]
	v_fma_f64 v[94:95], v[110:111], s[36:37], v[88:89]
	v_fma_f64 v[72:73], v[110:111], s[36:37], -v[88:89]
	s_delay_alu instid0(VALU_DEP_2) | instskip(SKIP_1) | instid1(VALU_DEP_3)
	v_add_f64_e32 v[62:63], v[94:95], v[62:63]
	v_mul_f64_e32 v[94:95], s[28:29], v[132:133]
	v_add_f64_e32 v[66:67], v[72:73], v[66:67]
	s_delay_alu instid0(VALU_DEP_2) | instskip(SKIP_1) | instid1(VALU_DEP_2)
	v_fma_f64 v[96:97], v[112:113], s[22:23], -v[94:95]
	v_fma_f64 v[70:71], v[112:113], s[22:23], v[94:95]
	v_add_f64_e32 v[60:61], v[96:97], v[60:61]
	v_mul_f64_e32 v[96:97], s[28:29], v[122:123]
	v_mul_f64_e32 v[122:123], s[12:13], v[136:137]
	s_delay_alu instid0(VALU_DEP_4) | instskip(SKIP_1) | instid1(VALU_DEP_4)
	v_add_f64_e32 v[64:65], v[70:71], v[64:65]
	v_fma_f64 v[70:71], v[128:129], s[10:11], v[116:117]
	v_fma_f64 v[106:107], v[118:119], s[22:23], v[96:97]
	v_fma_f64 v[74:75], v[118:119], s[22:23], -v[96:97]
	s_delay_alu instid0(VALU_DEP_2) | instskip(SKIP_1) | instid1(VALU_DEP_3)
	v_add_f64_e32 v[62:63], v[106:107], v[62:63]
	v_mul_f64_e32 v[106:107], s[4:5], v[138:139]
	v_add_f64_e32 v[66:67], v[74:75], v[66:67]
	v_fma_f64 v[74:75], v[134:135], s[10:11], -v[122:123]
	s_delay_alu instid0(VALU_DEP_3) | instskip(SKIP_1) | instid1(VALU_DEP_2)
	v_fma_f64 v[108:109], v[120:121], s[2:3], -v[106:107]
	v_fma_f64 v[68:69], v[120:121], s[2:3], v[106:107]
	v_add_f64_e32 v[60:61], v[108:109], v[60:61]
	v_mul_f64_e32 v[108:109], s[4:5], v[130:131]
	s_delay_alu instid0(VALU_DEP_3) | instskip(NEXT) | instid1(VALU_DEP_2)
	v_add_f64_e32 v[64:65], v[68:69], v[64:65]
	v_fma_f64 v[114:115], v[126:127], s[2:3], v[108:109]
	v_fma_f64 v[72:73], v[126:127], s[2:3], -v[108:109]
	s_delay_alu instid0(VALU_DEP_2) | instskip(SKIP_1) | instid1(VALU_DEP_3)
	v_add_f64_e32 v[114:115], v[114:115], v[62:63]
	v_fma_f64 v[62:63], v[128:129], s[10:11], -v[116:117]
	v_add_f64_e32 v[68:69], v[72:73], v[66:67]
	v_add_f64_e32 v[66:67], v[70:71], v[64:65]
	s_delay_alu instid0(VALU_DEP_3) | instskip(SKIP_1) | instid1(VALU_DEP_4)
	v_add_f64_e32 v[62:63], v[62:63], v[60:61]
	v_fma_f64 v[60:61], v[134:135], s[10:11], v[122:123]
	v_add_f64_e32 v[64:65], v[74:75], v[68:69]
	v_lshl_add_u32 v68, v82, 8, v182
	s_delay_alu instid0(VALU_DEP_3)
	v_add_f64_e32 v[60:61], v[60:61], v[114:115]
	ds_store_b128 v68, v[36:39] offset:32
	ds_store_b128 v68, v[40:43] offset:48
	;; [unrolled: 1-line block ×15, first 2 shown]
	ds_store_b128 v68, v[12:15]
	ds_store_b128 v68, v[64:67] offset:256
.LBB0_15:
	s_or_b32 exec_lo, exec_lo, s1
	v_and_b32_e32 v12, 0xff, v82
	s_load_b64 s[2:3], s[14:15], 0x0
	global_wb scope:SCOPE_SE
	s_wait_dscnt 0x0
	s_wait_kmcnt 0x0
	s_barrier_signal -1
	s_barrier_wait -1
	v_mul_lo_u16 v12, 0xf1, v12
	global_inv scope:SCOPE_SE
	s_mov_b32 s0, 0x667f3bcd
	s_mov_b32 s1, 0xbfe6a09e
	;; [unrolled: 1-line block ×3, first 2 shown]
	v_lshrrev_b16 v83, 12, v12
	s_wait_alu 0xfffe
	s_mov_b32 s4, s0
	s_delay_alu instid0(VALU_DEP_1) | instskip(NEXT) | instid1(VALU_DEP_1)
	v_mul_lo_u16 v12, v83, 17
	v_sub_nc_u16 v12, v82, v12
	s_delay_alu instid0(VALU_DEP_1) | instskip(NEXT) | instid1(VALU_DEP_1)
	v_and_b32_e32 v88, 0xff, v12
	v_mul_u32_u24_e32 v12, 7, v88
	s_delay_alu instid0(VALU_DEP_1)
	v_lshlrev_b32_e32 v36, 4, v12
	s_clause 0x6
	global_load_b128 v[12:15], v36, s[8:9]
	global_load_b128 v[16:19], v36, s[8:9] offset:16
	global_load_b128 v[20:23], v36, s[8:9] offset:48
	;; [unrolled: 1-line block ×6, first 2 shown]
	ds_load_b128 v[40:43], v182 offset:2992
	ds_load_b128 v[44:47], v182 offset:5984
	;; [unrolled: 1-line block ×7, first 2 shown]
	s_wait_loadcnt_dscnt 0x606
	v_mul_f64_e32 v[68:69], v[42:43], v[14:15]
	v_mul_f64_e32 v[14:15], v[40:41], v[14:15]
	s_wait_loadcnt_dscnt 0x505
	v_mul_f64_e32 v[70:71], v[46:47], v[18:19]
	v_mul_f64_e32 v[18:19], v[44:45], v[18:19]
	;; [unrolled: 3-line block ×7, first 2 shown]
	v_fma_f64 v[40:41], v[40:41], v[12:13], v[68:69]
	v_fma_f64 v[42:43], v[42:43], v[12:13], -v[14:15]
	v_fma_f64 v[44:45], v[44:45], v[16:17], v[70:71]
	v_fma_f64 v[16:17], v[46:47], v[16:17], -v[18:19]
	;; [unrolled: 2-line block ×7, first 2 shown]
	ds_load_b128 v[12:15], v182
	global_wb scope:SCOPE_SE
	s_wait_dscnt 0x0
	s_barrier_signal -1
	s_barrier_wait -1
	global_inv scope:SCOPE_SE
	v_add_f64_e64 v[18:19], v[12:13], -v[18:19]
	v_add_f64_e64 v[20:21], v[14:15], -v[20:21]
	;; [unrolled: 1-line block ×8, first 2 shown]
	v_fma_f64 v[12:13], v[12:13], 2.0, -v[18:19]
	v_fma_f64 v[14:15], v[14:15], 2.0, -v[20:21]
	;; [unrolled: 1-line block ×6, first 2 shown]
	v_add_f64_e32 v[24:25], v[18:19], v[24:25]
	v_add_f64_e64 v[22:23], v[20:21], -v[22:23]
	v_fma_f64 v[30:31], v[30:31], 2.0, -v[34:35]
	v_fma_f64 v[32:33], v[32:33], 2.0, -v[36:37]
	v_add_f64_e32 v[44:45], v[26:27], v[36:37]
	v_add_f64_e64 v[34:35], v[28:29], -v[34:35]
	v_add_f64_e64 v[46:47], v[12:13], -v[38:39]
	;; [unrolled: 1-line block ×3, first 2 shown]
	v_fma_f64 v[50:51], v[18:19], 2.0, -v[24:25]
	v_fma_f64 v[52:53], v[20:21], 2.0, -v[22:23]
	v_add_f64_e64 v[16:17], v[40:41], -v[30:31]
	v_add_f64_e64 v[18:19], v[42:43], -v[32:33]
	v_fma_f64 v[20:21], v[26:27], 2.0, -v[44:45]
	v_fma_f64 v[26:27], v[28:29], 2.0, -v[34:35]
	s_wait_alu 0xfffe
	v_fma_f64 v[28:29], v[44:45], s[4:5], v[24:25]
	v_fma_f64 v[30:31], v[34:35], s[4:5], v[22:23]
	v_fma_f64 v[12:13], v[12:13], 2.0, -v[46:47]
	v_fma_f64 v[14:15], v[14:15], 2.0, -v[48:49]
	;; [unrolled: 1-line block ×4, first 2 shown]
	v_fma_f64 v[56:57], v[20:21], s[0:1], v[50:51]
	v_fma_f64 v[58:59], v[26:27], s[0:1], v[52:53]
	v_add_f64_e32 v[36:37], v[46:47], v[18:19]
	v_add_f64_e64 v[38:39], v[48:49], -v[16:17]
	v_fma_f64 v[40:41], v[34:35], s[4:5], v[28:29]
	v_fma_f64 v[42:43], v[44:45], s[0:1], v[30:31]
	v_and_b32_e32 v44, 0xffff, v83
	v_lshlrev_b32_e32 v45, 4, v88
	s_delay_alu instid0(VALU_DEP_2) | instskip(NEXT) | instid1(VALU_DEP_1)
	v_mul_u32_u24_e32 v44, 0x880, v44
	v_add3_u32 v44, 0, v44, v45
	v_add_f64_e64 v[28:29], v[12:13], -v[32:33]
	v_add_f64_e64 v[30:31], v[14:15], -v[54:55]
	v_fma_f64 v[32:33], v[26:27], s[4:5], v[56:57]
	v_fma_f64 v[34:35], v[20:21], s[0:1], v[58:59]
	v_fma_f64 v[16:17], v[46:47], 2.0, -v[36:37]
	v_fma_f64 v[18:19], v[48:49], 2.0, -v[38:39]
	;; [unrolled: 1-line block ×4, first 2 shown]
	v_cmp_gt_u32_e64 s0, 0x88, v82
	v_fma_f64 v[12:13], v[12:13], 2.0, -v[28:29]
	v_fma_f64 v[14:15], v[14:15], 2.0, -v[30:31]
	;; [unrolled: 1-line block ×4, first 2 shown]
	ds_store_b128 v44, v[36:39] offset:1632
	ds_store_b128 v44, v[40:43] offset:1904
	;; [unrolled: 1-line block ×6, first 2 shown]
	ds_store_b128 v44, v[12:15]
	ds_store_b128 v44, v[20:23] offset:272
	global_wb scope:SCOPE_SE
	s_wait_dscnt 0x0
	s_barrier_signal -1
	s_barrier_wait -1
	global_inv scope:SCOPE_SE
	s_and_saveexec_b32 s1, s0
	s_cbranch_execz .LBB0_17
; %bb.16:
	ds_load_b128 v[12:15], v182
	ds_load_b128 v[20:23], v182 offset:2176
	ds_load_b128 v[16:19], v182 offset:4352
	;; [unrolled: 1-line block ×10, first 2 shown]
.LBB0_17:
	s_wait_alu 0xfffe
	s_or_b32 exec_lo, exec_lo, s1
	global_wb scope:SCOPE_SE
	s_wait_dscnt 0x0
	s_barrier_signal -1
	s_barrier_wait -1
	global_inv scope:SCOPE_SE
	s_and_saveexec_b32 s16, s0
	s_cbranch_execz .LBB0_19
; %bb.18:
	v_dual_mov_b32 v45, 0 :: v_dual_add_nc_u32 v44, 0xffffff78, v82
	s_mov_b32 s22, 0xbb3a28a1
	s_mov_b32 s23, 0xbfe82f19
	;; [unrolled: 1-line block ×3, first 2 shown]
	s_delay_alu instid0(VALU_DEP_1)
	v_cndmask_b32_e64 v44, v44, v82, s0
	s_mov_b32 s27, 0xbfd207e7
	s_mov_b32 s21, 0x3fed1bb4
	;; [unrolled: 1-line block ×4, first 2 shown]
	v_mul_i32_i24_e32 v44, 10, v44
	s_mov_b32 s24, 0xf8bb580b
	s_mov_b32 s19, 0xbfefac9e
	;; [unrolled: 1-line block ×4, first 2 shown]
	v_lshlrev_b64_e32 v[44:45], 4, v[44:45]
	s_wait_alu 0xfffe
	s_mov_b32 s28, s24
	s_mov_b32 s10, 0x7f775887
	;; [unrolled: 1-line block ×5, first 2 shown]
	v_add_co_u32 v86, s0, s8, v44
	s_wait_alu 0xf1ff
	v_add_co_ci_u32_e64 v87, s0, s9, v45, s0
	s_mov_b32 s30, s18
	s_mov_b32 s5, 0xbfeeb42a
	;; [unrolled: 1-line block ×3, first 2 shown]
	s_clause 0x9
	global_load_b128 v[44:47], v[86:87], off offset:1904
	global_load_b128 v[48:51], v[86:87], off offset:1968
	;; [unrolled: 1-line block ×10, first 2 shown]
	s_mov_b32 s34, s26
	s_mov_b32 s14, 0x640f44db
	;; [unrolled: 1-line block ×7, first 2 shown]
	s_wait_loadcnt 0x9
	v_mul_f64_e32 v[90:91], v[20:21], v[46:47]
	v_mul_f64_e32 v[46:47], v[22:23], v[46:47]
	s_wait_loadcnt 0x8
	v_mul_f64_e32 v[92:93], v[34:35], v[50:51]
	s_wait_loadcnt 0x7
	;; [unrolled: 2-line block ×3, first 2 shown]
	v_mul_f64_e32 v[98:99], v[42:43], v[62:63]
	v_mul_f64_e32 v[50:51], v[32:33], v[50:51]
	s_wait_loadcnt 0x3
	v_mul_f64_e32 v[102:103], v[2:3], v[70:71]
	s_wait_loadcnt 0x2
	v_mul_f64_e32 v[104:105], v[18:19], v[74:75]
	v_mul_f64_e32 v[70:71], v[0:1], v[70:71]
	s_wait_loadcnt 0x0
	v_mul_f64_e32 v[108:109], v[10:11], v[88:89]
	v_mul_f64_e32 v[74:75], v[16:17], v[74:75]
	;; [unrolled: 1-line block ×11, first 2 shown]
	v_fma_f64 v[90:91], v[22:23], v[44:45], -v[90:91]
	v_fma_f64 v[44:45], v[20:21], v[44:45], v[46:47]
	v_fma_f64 v[32:33], v[32:33], v[48:49], v[92:93]
	v_fma_f64 v[36:37], v[36:37], v[52:53], v[94:95]
	v_fma_f64 v[22:23], v[40:41], v[60:61], v[98:99]
	v_fma_f64 v[34:35], v[34:35], v[48:49], -v[50:51]
	v_fma_f64 v[20:21], v[0:1], v[68:69], v[102:103]
	v_fma_f64 v[16:17], v[16:17], v[72:73], v[104:105]
	;; [unrolled: 1-line block ×3, first 2 shown]
	v_fma_f64 v[8:9], v[2:3], v[68:69], -v[70:71]
	v_fma_f64 v[18:19], v[18:19], v[72:73], -v[74:75]
	;; [unrolled: 1-line block ×4, first 2 shown]
	v_fma_f64 v[46:47], v[28:29], v[56:57], v[96:97]
	v_fma_f64 v[30:31], v[30:31], v[56:57], -v[58:59]
	v_fma_f64 v[28:29], v[42:43], v[60:61], -v[62:63]
	v_fma_f64 v[24:25], v[24:25], v[64:65], v[100:101]
	v_fma_f64 v[26:27], v[26:27], v[64:65], -v[66:67]
	v_fma_f64 v[4:5], v[4:5], v[76:77], v[106:107]
	v_fma_f64 v[6:7], v[6:7], v[76:77], -v[78:79]
	v_add_f64_e32 v[10:11], v[14:15], v[90:91]
	v_add_f64_e32 v[40:41], v[12:13], v[44:45]
	v_add_f64_e64 v[42:43], v[32:33], -v[36:37]
	v_add_f64_e32 v[74:75], v[32:33], v[36:37]
	v_add_f64_e64 v[54:55], v[44:45], -v[0:1]
	v_add_f64_e32 v[44:45], v[44:45], v[0:1]
	v_add_f64_e64 v[64:65], v[90:91], -v[2:3]
	v_add_f64_e64 v[56:57], v[34:35], -v[38:39]
	v_add_f64_e64 v[48:49], v[46:47], -v[22:23]
	v_add_f64_e32 v[72:73], v[90:91], v[2:3]
	v_add_f64_e64 v[58:59], v[30:31], -v[28:29]
	v_add_f64_e64 v[50:51], v[24:25], -v[20:21]
	;; [unrolled: 1-line block ×3, first 2 shown]
	v_add_f64_e32 v[78:79], v[24:25], v[20:21]
	v_add_f64_e64 v[52:53], v[16:17], -v[4:5]
	v_add_f64_e64 v[62:63], v[18:19], -v[6:7]
	v_add_f64_e32 v[70:71], v[26:27], v[8:9]
	v_add_f64_e32 v[68:69], v[30:31], v[28:29]
	;; [unrolled: 1-line block ×7, first 2 shown]
	v_mul_f64_e32 v[106:107], s[20:21], v[42:43]
	v_add_f64_e32 v[16:17], v[16:17], v[4:5]
	v_mul_f64_e32 v[86:87], s[18:19], v[42:43]
	v_mul_f64_e32 v[122:123], s[22:23], v[42:43]
	;; [unrolled: 1-line block ×6, first 2 shown]
	s_wait_alu 0xfffe
	v_mul_f64_e32 v[158:159], s[28:29], v[54:55]
	v_mul_f64_e32 v[120:121], s[22:23], v[64:65]
	;; [unrolled: 1-line block ×8, first 2 shown]
	s_mov_b32 s21, 0xbfed1bb4
	v_mul_f64_e32 v[140:141], s[18:19], v[64:65]
	s_wait_alu 0xfffe
	v_mul_f64_e32 v[160:161], s[20:21], v[64:65]
	v_mul_f64_e32 v[64:65], s[28:29], v[64:65]
	;; [unrolled: 1-line block ×17, first 2 shown]
	v_add_f64_e32 v[10:11], v[10:11], v[26:27]
	v_add_f64_e32 v[24:25], v[40:41], v[24:25]
	v_mul_f64_e32 v[40:41], s[22:23], v[54:55]
	v_mul_f64_e32 v[54:55], s[20:21], v[54:55]
	;; [unrolled: 1-line block ×7, first 2 shown]
	v_fma_f64 v[166:167], v[72:73], s[4:5], v[94:95]
	v_fma_f64 v[94:95], v[72:73], s[4:5], -v[94:95]
	v_fma_f64 v[183:184], v[72:73], s[14:15], v[130:131]
	v_fma_f64 v[180:181], v[44:45], s[10:11], -v[120:121]
	;; [unrolled: 2-line block ×5, first 2 shown]
	v_mul_f64_e32 v[152:153], s[30:31], v[58:59]
	v_fma_f64 v[185:186], v[44:45], s[14:15], -v[140:141]
	v_fma_f64 v[191:192], v[44:45], s[0:1], v[160:161]
	v_fma_f64 v[140:141], v[44:45], s[14:15], v[140:141]
	v_mul_f64_e32 v[48:49], s[22:23], v[48:49]
	v_fma_f64 v[164:165], v[18:19], s[12:13], v[92:93]
	v_fma_f64 v[174:175], v[16:17], s[12:13], -v[102:103]
	v_fma_f64 v[92:93], v[18:19], s[12:13], -v[92:93]
	v_fma_f64 v[102:103], v[16:17], s[12:13], v[102:103]
	v_fma_f64 v[195:196], v[18:19], s[10:11], v[148:149]
	v_fma_f64 v[148:149], v[18:19], s[10:11], -v[148:149]
	v_fma_f64 v[193:194], v[16:17], s[4:5], -v[138:139]
	v_fma_f64 v[138:139], v[16:17], s[4:5], v[138:139]
	v_fma_f64 v[197:198], v[16:17], s[10:11], -v[156:157]
	v_fma_f64 v[156:157], v[16:17], s[10:11], v[156:157]
	v_fma_f64 v[162:163], v[70:71], s[10:11], v[90:91]
	v_fma_f64 v[172:173], v[78:79], s[10:11], -v[100:101]
	v_fma_f64 v[90:91], v[70:71], s[10:11], -v[90:91]
	v_fma_f64 v[100:101], v[78:79], s[10:11], v[100:101]
	v_add_f64_e32 v[10:11], v[10:11], v[30:31]
	v_add_f64_e32 v[24:25], v[24:25], v[46:47]
	v_fma_f64 v[178:179], v[72:73], s[10:11], v[40:41]
	v_fma_f64 v[40:41], v[72:73], s[10:11], -v[40:41]
	v_mul_f64_e32 v[30:31], s[20:21], v[52:53]
	v_mul_f64_e32 v[46:47], s[20:21], v[62:63]
	v_fma_f64 v[189:190], v[72:73], s[0:1], -v[54:55]
	v_fma_f64 v[54:55], v[72:73], s[0:1], v[54:55]
	v_fma_f64 v[72:73], v[44:45], s[0:1], -v[160:161]
	v_fma_f64 v[160:161], v[18:19], s[4:5], v[128:129]
	v_fma_f64 v[128:129], v[18:19], s[4:5], -v[128:129]
	v_add_f64_e32 v[94:95], v[14:15], v[94:95]
	v_fma_f64 v[203:204], v[70:71], s[14:15], v[50:51]
	v_add_f64_e32 v[120:121], v[12:13], v[120:121]
	v_fma_f64 v[205:206], v[78:79], s[14:15], -v[60:61]
	v_add_f64_e32 v[104:105], v[12:13], v[104:105]
	v_add_f64_e32 v[130:131], v[14:15], v[130:131]
	v_fma_f64 v[50:51], v[70:71], s[14:15], -v[50:51]
	v_add_f64_e32 v[158:159], v[14:15], v[158:159]
	v_fma_f64 v[60:61], v[78:79], s[14:15], v[60:61]
	v_mul_f64_e32 v[134:135], s[28:29], v[58:59]
	v_mul_f64_e32 v[58:59], s[22:23], v[58:59]
	v_add_f64_e32 v[140:141], v[12:13], v[140:141]
	v_mul_f64_e32 v[96:97], s[18:19], v[56:57]
	v_fma_f64 v[62:63], v[68:69], s[0:1], v[88:89]
	v_fma_f64 v[170:171], v[76:77], s[0:1], -v[98:99]
	v_fma_f64 v[88:89], v[68:69], s[0:1], -v[88:89]
	v_fma_f64 v[98:99], v[76:77], s[0:1], v[98:99]
	v_mul_f64_e32 v[132:133], s[22:23], v[56:57]
	v_mul_f64_e32 v[150:151], s[24:25], v[56:57]
	;; [unrolled: 1-line block ×3, first 2 shown]
	v_fma_f64 v[52:53], v[66:67], s[14:15], v[86:87]
	v_fma_f64 v[86:87], v[66:67], s[14:15], -v[86:87]
	v_add_f64_e32 v[10:11], v[10:11], v[34:35]
	v_add_f64_e32 v[24:25], v[24:25], v[32:33]
	v_fma_f64 v[32:33], v[44:45], s[12:13], v[64:65]
	v_fma_f64 v[34:35], v[44:45], s[12:13], -v[64:65]
	v_fma_f64 v[44:45], v[18:19], s[14:15], v[26:27]
	v_fma_f64 v[64:65], v[16:17], s[14:15], -v[118:119]
	v_fma_f64 v[26:27], v[18:19], s[14:15], -v[26:27]
	v_fma_f64 v[118:119], v[16:17], s[14:15], v[118:119]
	v_add_f64_e32 v[40:41], v[14:15], v[40:41]
	v_fma_f64 v[199:200], v[18:19], s[0:1], v[30:31]
	v_fma_f64 v[18:19], v[18:19], s[0:1], -v[30:31]
	v_add_f64_e32 v[30:31], v[14:15], v[166:167]
	v_fma_f64 v[201:202], v[16:17], s[0:1], -v[46:47]
	v_fma_f64 v[16:17], v[16:17], s[0:1], v[46:47]
	v_add_f64_e32 v[46:47], v[12:13], v[176:177]
	v_add_f64_e32 v[166:167], v[14:15], v[178:179]
	;; [unrolled: 1-line block ×10, first 2 shown]
	v_fma_f64 v[72:73], v[78:79], s[12:13], v[116:117]
	v_fma_f64 v[189:190], v[70:71], s[4:5], v[146:147]
	v_fma_f64 v[191:192], v[78:79], s[4:5], -v[154:155]
	v_fma_f64 v[146:147], v[70:71], s[4:5], -v[146:147]
	v_fma_f64 v[154:155], v[78:79], s[4:5], v[154:155]
	v_fma_f64 v[168:169], v[74:75], s[14:15], -v[96:97]
	v_fma_f64 v[96:97], v[74:75], s[14:15], v[96:97]
	v_add_f64_e32 v[10:11], v[10:11], v[38:39]
	v_add_f64_e32 v[24:25], v[24:25], v[36:37]
	;; [unrolled: 1-line block ×4, first 2 shown]
	v_fma_f64 v[38:39], v[70:71], s[12:13], -v[110:111]
	v_fma_f64 v[34:35], v[70:71], s[12:13], v[110:111]
	v_fma_f64 v[36:37], v[78:79], s[12:13], -v[116:117]
	v_fma_f64 v[110:111], v[70:71], s[0:1], v[126:127]
	v_add_f64_e32 v[26:27], v[26:27], v[40:41]
	v_add_f64_e32 v[40:41], v[118:119], v[120:121]
	v_fma_f64 v[116:117], v[78:79], s[0:1], -v[136:137]
	v_fma_f64 v[126:127], v[70:71], s[0:1], -v[126:127]
	v_fma_f64 v[136:137], v[78:79], s[0:1], v[136:137]
	v_add_f64_e32 v[30:31], v[164:165], v[30:31]
	v_add_f64_e32 v[70:71], v[92:93], v[94:95]
	;; [unrolled: 1-line block ×16, first 2 shown]
	v_fma_f64 v[138:139], v[68:69], s[14:15], v[144:145]
	v_fma_f64 v[140:141], v[76:77], s[14:15], -v[152:153]
	v_fma_f64 v[144:145], v[68:69], s[14:15], -v[144:145]
	v_fma_f64 v[148:149], v[76:77], s[14:15], v[152:153]
	v_fma_f64 v[152:153], v[68:69], s[10:11], v[48:49]
	v_fma_f64 v[48:49], v[68:69], s[10:11], -v[48:49]
	v_fma_f64 v[130:131], v[76:77], s[12:13], -v[134:135]
	v_fma_f64 v[134:135], v[76:77], s[12:13], v[134:135]
	v_fma_f64 v[156:157], v[76:77], s[10:11], -v[58:59]
	v_add_f64_e32 v[10:11], v[10:11], v[28:29]
	v_add_f64_e32 v[22:23], v[24:25], v[22:23]
	;; [unrolled: 1-line block ×4, first 2 shown]
	v_fma_f64 v[24:25], v[68:69], s[4:5], v[108:109]
	v_fma_f64 v[32:33], v[68:69], s[4:5], -v[108:109]
	v_fma_f64 v[108:109], v[76:77], s[4:5], v[114:115]
	v_fma_f64 v[28:29], v[76:77], s[4:5], -v[114:115]
	v_add_f64_e32 v[26:27], v[38:39], v[26:27]
	v_add_f64_e32 v[38:39], v[72:73], v[40:41]
	v_fma_f64 v[114:115], v[68:69], s[12:13], v[124:125]
	v_fma_f64 v[124:125], v[68:69], s[12:13], -v[124:125]
	v_fma_f64 v[58:59], v[76:77], s[10:11], v[58:59]
	v_add_f64_e32 v[30:31], v[162:163], v[30:31]
	v_add_f64_e32 v[68:69], v[90:91], v[70:71]
	;; [unrolled: 1-line block ×16, first 2 shown]
	v_fma_f64 v[90:91], v[74:75], s[0:1], v[112:113]
	v_fma_f64 v[92:93], v[66:67], s[10:11], v[122:123]
	v_fma_f64 v[100:101], v[66:67], s[10:11], -v[122:123]
	v_fma_f64 v[104:105], v[66:67], s[12:13], v[142:143]
	v_fma_f64 v[110:111], v[66:67], s[12:13], -v[142:143]
	;; [unrolled: 2-line block ×3, first 2 shown]
	v_fma_f64 v[94:95], v[74:75], s[10:11], -v[132:133]
	v_fma_f64 v[102:103], v[74:75], s[10:11], v[132:133]
	v_add_f64_e32 v[8:9], v[10:11], v[8:9]
	v_add_f64_e32 v[10:11], v[22:23], v[20:21]
	;; [unrolled: 1-line block ×4, first 2 shown]
	v_fma_f64 v[60:61], v[66:67], s[0:1], -v[106:107]
	v_fma_f64 v[20:21], v[66:67], s[0:1], v[106:107]
	v_fma_f64 v[22:23], v[74:75], s[0:1], -v[112:113]
	v_fma_f64 v[112:113], v[74:75], s[12:13], v[150:151]
	v_add_f64_e32 v[26:27], v[32:33], v[26:27]
	v_add_f64_e32 v[32:33], v[108:109], v[38:39]
	v_fma_f64 v[106:107], v[74:75], s[12:13], -v[150:151]
	v_fma_f64 v[118:119], v[74:75], s[4:5], -v[56:57]
	v_fma_f64 v[56:57], v[74:75], s[4:5], v[56:57]
	v_add_f64_e32 v[30:31], v[62:63], v[30:31]
	v_add_f64_e32 v[62:63], v[88:89], v[68:69]
	;; [unrolled: 1-line block ×42, first 2 shown]
	ds_store_b128 v182, v[16:19] offset:8704
	ds_store_b128 v182, v[8:11] offset:10880
	;; [unrolled: 1-line block ×8, first 2 shown]
	ds_store_b128 v182, v[0:3]
	ds_store_b128 v182, v[32:35] offset:2176
	ds_store_b128 v182, v[28:31] offset:21760
.LBB0_19:
	s_wait_alu 0xfffe
	s_or_b32 exec_lo, exec_lo, s16
	global_wb scope:SCOPE_SE
	s_wait_dscnt 0x0
	s_barrier_signal -1
	s_barrier_wait -1
	global_inv scope:SCOPE_SE
	ds_load_b128 v[4:7], v182
	v_lshlrev_b32_e32 v0, 4, v82
	s_mov_b32 s1, exec_lo
                                        ; implicit-def: $vgpr8_vgpr9
                                        ; implicit-def: $vgpr10_vgpr11
                                        ; implicit-def: $vgpr12_vgpr13
	s_delay_alu instid0(VALU_DEP_1)
	v_sub_nc_u32_e32 v14, 0, v0
                                        ; implicit-def: $vgpr0_vgpr1
	v_cmpx_ne_u32_e32 0, v82
	s_wait_alu 0xfffe
	s_xor_b32 s1, exec_lo, s1
	s_cbranch_execz .LBB0_21
; %bb.20:
	v_mov_b32_e32 v83, 0
	s_delay_alu instid0(VALU_DEP_1) | instskip(NEXT) | instid1(VALU_DEP_1)
	v_lshlrev_b64_e32 v[0:1], 4, v[82:83]
	v_add_co_u32 v0, s0, s8, v0
	s_wait_alu 0xf1ff
	s_delay_alu instid0(VALU_DEP_2)
	v_add_co_ci_u32_e64 v1, s0, s9, v1, s0
	global_load_b128 v[15:18], v[0:1], off offset:23664
	ds_load_b128 v[0:3], v14 offset:23936
	s_wait_dscnt 0x0
	v_add_f64_e64 v[8:9], v[4:5], -v[0:1]
	v_add_f64_e32 v[10:11], v[6:7], v[2:3]
	v_add_f64_e64 v[2:3], v[6:7], -v[2:3]
	v_add_f64_e32 v[0:1], v[4:5], v[0:1]
	s_delay_alu instid0(VALU_DEP_4) | instskip(NEXT) | instid1(VALU_DEP_4)
	v_mul_f64_e32 v[6:7], 0.5, v[8:9]
	v_mul_f64_e32 v[4:5], 0.5, v[10:11]
	s_delay_alu instid0(VALU_DEP_4) | instskip(SKIP_1) | instid1(VALU_DEP_3)
	v_mul_f64_e32 v[2:3], 0.5, v[2:3]
	s_wait_loadcnt 0x0
	v_mul_f64_e32 v[8:9], v[6:7], v[17:18]
	s_delay_alu instid0(VALU_DEP_2) | instskip(SKIP_1) | instid1(VALU_DEP_3)
	v_fma_f64 v[10:11], v[4:5], v[17:18], v[2:3]
	v_fma_f64 v[2:3], v[4:5], v[17:18], -v[2:3]
	v_fma_f64 v[12:13], v[0:1], 0.5, v[8:9]
	v_fma_f64 v[0:1], v[0:1], 0.5, -v[8:9]
	s_delay_alu instid0(VALU_DEP_4) | instskip(NEXT) | instid1(VALU_DEP_4)
	v_fma_f64 v[10:11], -v[15:16], v[6:7], v[10:11]
	v_fma_f64 v[2:3], -v[15:16], v[6:7], v[2:3]
	s_delay_alu instid0(VALU_DEP_4) | instskip(NEXT) | instid1(VALU_DEP_4)
	v_fma_f64 v[8:9], v[4:5], v[15:16], v[12:13]
	v_fma_f64 v[0:1], -v[4:5], v[15:16], v[0:1]
	v_dual_mov_b32 v12, v82 :: v_dual_mov_b32 v13, v83
                                        ; implicit-def: $vgpr4_vgpr5
.LBB0_21:
	s_wait_alu 0xfffe
	s_and_not1_saveexec_b32 s0, s1
	s_cbranch_execz .LBB0_23
; %bb.22:
	s_wait_dscnt 0x0
	v_add_f64_e32 v[8:9], v[4:5], v[6:7]
	v_add_f64_e64 v[0:1], v[4:5], -v[6:7]
	v_mov_b32_e32 v6, 0
	v_mov_b32_e32 v10, 0
	v_dual_mov_b32 v11, 0 :: v_dual_mov_b32 v12, 0
	s_delay_alu instid0(VALU_DEP_2)
	v_mov_b32_e32 v2, v10
	ds_load_b64 v[4:5], v6 offset:11976
	v_mov_b32_e32 v13, 0
	v_mov_b32_e32 v3, v11
	s_wait_dscnt 0x0
	v_xor_b32_e32 v5, 0x80000000, v5
	ds_store_b64 v6, v[4:5] offset:11976
.LBB0_23:
	s_wait_alu 0xfffe
	s_or_b32 exec_lo, exec_lo, s0
	s_wait_dscnt 0x0
	v_lshlrev_b64_e32 v[4:5], 4, v[12:13]
	s_add_nc_u64 s[0:1], s[8:9], 0x5c70
	s_wait_alu 0xfffe
	s_delay_alu instid0(VALU_DEP_1) | instskip(SKIP_1) | instid1(VALU_DEP_2)
	v_add_co_u32 v12, s0, s0, v4
	s_wait_alu 0xf1ff
	v_add_co_ci_u32_e64 v13, s0, s1, v5, s0
	s_clause 0x1
	global_load_b128 v[4:7], v[12:13], off offset:2992
	global_load_b128 v[15:18], v[12:13], off offset:5984
	ds_store_2addr_b64 v182, v[8:9], v[10:11] offset1:1
	ds_store_b128 v14, v[0:3] offset:23936
	ds_load_b128 v[0:3], v182 offset:2992
	ds_load_b128 v[8:11], v14 offset:20944
	s_wait_dscnt 0x0
	v_add_f64_e64 v[19:20], v[0:1], -v[8:9]
	v_add_f64_e32 v[21:22], v[2:3], v[10:11]
	v_add_f64_e64 v[2:3], v[2:3], -v[10:11]
	v_add_f64_e32 v[0:1], v[0:1], v[8:9]
	s_delay_alu instid0(VALU_DEP_4) | instskip(NEXT) | instid1(VALU_DEP_4)
	v_mul_f64_e32 v[10:11], 0.5, v[19:20]
	v_mul_f64_e32 v[19:20], 0.5, v[21:22]
	s_delay_alu instid0(VALU_DEP_4) | instskip(SKIP_1) | instid1(VALU_DEP_3)
	v_mul_f64_e32 v[2:3], 0.5, v[2:3]
	s_wait_loadcnt 0x1
	v_mul_f64_e32 v[8:9], v[10:11], v[6:7]
	s_delay_alu instid0(VALU_DEP_2) | instskip(SKIP_1) | instid1(VALU_DEP_3)
	v_fma_f64 v[21:22], v[19:20], v[6:7], v[2:3]
	v_fma_f64 v[2:3], v[19:20], v[6:7], -v[2:3]
	v_fma_f64 v[6:7], v[0:1], 0.5, v[8:9]
	v_fma_f64 v[0:1], v[0:1], 0.5, -v[8:9]
	s_delay_alu instid0(VALU_DEP_4) | instskip(NEXT) | instid1(VALU_DEP_4)
	v_fma_f64 v[8:9], -v[4:5], v[10:11], v[21:22]
	v_fma_f64 v[2:3], -v[4:5], v[10:11], v[2:3]
	s_delay_alu instid0(VALU_DEP_4) | instskip(NEXT) | instid1(VALU_DEP_4)
	v_fma_f64 v[10:11], v[19:20], v[4:5], v[6:7]
	v_fma_f64 v[0:1], -v[19:20], v[4:5], v[0:1]
	global_load_b128 v[4:7], v[12:13], off offset:8976
	v_add_nc_u32_e32 v12, 0x800, v182
	ds_store_2addr_b64 v12, v[10:11], v[8:9] offset0:118 offset1:119
	ds_store_b128 v14, v[0:3] offset:20944
	ds_load_b128 v[0:3], v182 offset:5984
	ds_load_b128 v[8:11], v14 offset:17952
	s_wait_dscnt 0x0
	v_add_f64_e64 v[12:13], v[0:1], -v[8:9]
	v_add_f64_e32 v[19:20], v[2:3], v[10:11]
	v_add_f64_e64 v[2:3], v[2:3], -v[10:11]
	v_add_f64_e32 v[0:1], v[0:1], v[8:9]
	s_delay_alu instid0(VALU_DEP_4) | instskip(NEXT) | instid1(VALU_DEP_4)
	v_mul_f64_e32 v[10:11], 0.5, v[12:13]
	v_mul_f64_e32 v[12:13], 0.5, v[19:20]
	s_delay_alu instid0(VALU_DEP_4) | instskip(SKIP_1) | instid1(VALU_DEP_3)
	v_mul_f64_e32 v[2:3], 0.5, v[2:3]
	s_wait_loadcnt 0x1
	v_mul_f64_e32 v[8:9], v[10:11], v[17:18]
	s_delay_alu instid0(VALU_DEP_2) | instskip(SKIP_1) | instid1(VALU_DEP_3)
	v_fma_f64 v[19:20], v[12:13], v[17:18], v[2:3]
	v_fma_f64 v[2:3], v[12:13], v[17:18], -v[2:3]
	v_fma_f64 v[17:18], v[0:1], 0.5, v[8:9]
	v_fma_f64 v[0:1], v[0:1], 0.5, -v[8:9]
	s_delay_alu instid0(VALU_DEP_4) | instskip(NEXT) | instid1(VALU_DEP_4)
	v_fma_f64 v[8:9], -v[15:16], v[10:11], v[19:20]
	v_fma_f64 v[2:3], -v[15:16], v[10:11], v[2:3]
	s_delay_alu instid0(VALU_DEP_4) | instskip(NEXT) | instid1(VALU_DEP_4)
	v_fma_f64 v[10:11], v[12:13], v[15:16], v[17:18]
	v_fma_f64 v[0:1], -v[12:13], v[15:16], v[0:1]
	v_add_nc_u32_e32 v12, 0x1000, v182
	ds_store_2addr_b64 v12, v[10:11], v[8:9] offset0:236 offset1:237
	ds_store_b128 v14, v[0:3] offset:17952
	ds_load_b128 v[0:3], v182 offset:8976
	ds_load_b128 v[8:11], v14 offset:14960
	s_wait_dscnt 0x0
	v_add_f64_e64 v[12:13], v[0:1], -v[8:9]
	v_add_f64_e32 v[15:16], v[2:3], v[10:11]
	v_add_f64_e64 v[2:3], v[2:3], -v[10:11]
	v_add_f64_e32 v[0:1], v[0:1], v[8:9]
	s_delay_alu instid0(VALU_DEP_4) | instskip(NEXT) | instid1(VALU_DEP_4)
	v_mul_f64_e32 v[10:11], 0.5, v[12:13]
	v_mul_f64_e32 v[12:13], 0.5, v[15:16]
	s_delay_alu instid0(VALU_DEP_4) | instskip(SKIP_1) | instid1(VALU_DEP_3)
	v_mul_f64_e32 v[2:3], 0.5, v[2:3]
	s_wait_loadcnt 0x0
	v_mul_f64_e32 v[8:9], v[10:11], v[6:7]
	s_delay_alu instid0(VALU_DEP_2) | instskip(SKIP_1) | instid1(VALU_DEP_3)
	v_fma_f64 v[15:16], v[12:13], v[6:7], v[2:3]
	v_fma_f64 v[2:3], v[12:13], v[6:7], -v[2:3]
	v_fma_f64 v[6:7], v[0:1], 0.5, v[8:9]
	v_fma_f64 v[0:1], v[0:1], 0.5, -v[8:9]
	s_delay_alu instid0(VALU_DEP_4) | instskip(NEXT) | instid1(VALU_DEP_4)
	v_fma_f64 v[8:9], -v[4:5], v[10:11], v[15:16]
	v_fma_f64 v[2:3], -v[4:5], v[10:11], v[2:3]
	s_delay_alu instid0(VALU_DEP_4) | instskip(NEXT) | instid1(VALU_DEP_4)
	v_fma_f64 v[6:7], v[12:13], v[4:5], v[6:7]
	v_fma_f64 v[0:1], -v[12:13], v[4:5], v[0:1]
	v_add_nc_u32_e32 v4, 0x2000, v182
	ds_store_2addr_b64 v4, v[6:7], v[8:9] offset0:98 offset1:99
	ds_store_b128 v14, v[0:3] offset:14960
	global_wb scope:SCOPE_SE
	s_wait_dscnt 0x0
	s_barrier_signal -1
	s_barrier_wait -1
	global_inv scope:SCOPE_SE
	s_and_saveexec_b32 s0, vcc_lo
	s_cbranch_execz .LBB0_26
; %bb.24:
	v_mul_lo_u32 v2, s3, v84
	v_mul_lo_u32 v3, s2, v85
	v_mad_co_u64_u32 v[0:1], null, s2, v84, 0
	v_dual_mov_b32 v83, 0 :: v_dual_add_nc_u32 v12, 0xbb, v82
	v_lshlrev_b64_e32 v[10:11], 4, v[80:81]
	v_lshl_add_u32 v28, v82, 4, 0
	s_delay_alu instid0(VALU_DEP_3)
	v_dual_mov_b32 v13, v83 :: v_dual_add_nc_u32 v14, 0x176, v82
	v_add3_u32 v1, v1, v3, v2
	v_lshlrev_b64_e32 v[16:17], 4, v[82:83]
	v_dual_mov_b32 v15, v83 :: v_dual_add_nc_u32 v24, 0x231, v82
	ds_load_b128 v[2:5], v28
	ds_load_b128 v[6:9], v28 offset:2992
	v_lshlrev_b64_e32 v[0:1], 4, v[0:1]
	v_lshlrev_b64_e32 v[18:19], 4, v[12:13]
	v_lshlrev_b64_e32 v[20:21], 4, v[14:15]
	v_dual_mov_b32 v25, v83 :: v_dual_add_nc_u32 v26, 0x2ec, v82
	v_mov_b32_e32 v27, v83
	v_add_co_u32 v0, vcc_lo, s6, v0
	s_wait_alu 0xfffd
	v_add_co_ci_u32_e32 v1, vcc_lo, s7, v1, vcc_lo
	v_lshlrev_b64_e32 v[24:25], 4, v[24:25]
	s_delay_alu instid0(VALU_DEP_3) | instskip(SKIP_1) | instid1(VALU_DEP_3)
	v_add_co_u32 v0, vcc_lo, v0, v10
	s_wait_alu 0xfffd
	v_add_co_ci_u32_e32 v1, vcc_lo, v1, v11, vcc_lo
	s_delay_alu instid0(VALU_DEP_2) | instskip(SKIP_1) | instid1(VALU_DEP_2)
	v_add_co_u32 v22, vcc_lo, v0, v16
	s_wait_alu 0xfffd
	v_add_co_ci_u32_e32 v23, vcc_lo, v1, v17, vcc_lo
	ds_load_b128 v[10:13], v28 offset:5984
	ds_load_b128 v[14:17], v28 offset:8976
	v_add_co_u32 v18, vcc_lo, v0, v18
	s_wait_alu 0xfffd
	v_add_co_ci_u32_e32 v19, vcc_lo, v1, v19, vcc_lo
	v_add_co_u32 v20, vcc_lo, v0, v20
	s_wait_alu 0xfffd
	v_add_co_ci_u32_e32 v21, vcc_lo, v1, v21, vcc_lo
	;; [unrolled: 3-line block ×3, first 2 shown]
	s_wait_dscnt 0x3
	global_store_b128 v[22:23], v[2:5], off
	s_wait_dscnt 0x2
	global_store_b128 v[18:19], v[6:9], off
	;; [unrolled: 2-line block ×4, first 2 shown]
	v_add_nc_u32_e32 v10, 0x3a7, v82
	v_lshlrev_b64_e32 v[2:3], 4, v[26:27]
	v_dual_mov_b32 v11, v83 :: v_dual_add_nc_u32 v12, 0x462, v82
	v_dual_mov_b32 v13, v83 :: v_dual_add_nc_u32 v24, 0x51d, v82
	v_mov_b32_e32 v25, v83
	s_delay_alu instid0(VALU_DEP_4)
	v_add_co_u32 v18, vcc_lo, v0, v2
	s_wait_alu 0xfffd
	v_add_co_ci_u32_e32 v19, vcc_lo, v1, v3, vcc_lo
	ds_load_b128 v[2:5], v28 offset:11968
	ds_load_b128 v[6:9], v28 offset:14960
	v_lshlrev_b64_e32 v[20:21], 4, v[10:11]
	v_lshlrev_b64_e32 v[22:23], 4, v[12:13]
	ds_load_b128 v[10:13], v28 offset:17952
	ds_load_b128 v[14:17], v28 offset:20944
	v_lshlrev_b64_e32 v[24:25], 4, v[24:25]
	v_add_co_u32 v20, vcc_lo, v0, v20
	s_wait_alu 0xfffd
	v_add_co_ci_u32_e32 v21, vcc_lo, v1, v21, vcc_lo
	v_add_co_u32 v22, vcc_lo, v0, v22
	s_wait_alu 0xfffd
	v_add_co_ci_u32_e32 v23, vcc_lo, v1, v23, vcc_lo
	;; [unrolled: 3-line block ×3, first 2 shown]
	v_cmp_eq_u32_e32 vcc_lo, 0xba, v82
	s_wait_dscnt 0x3
	global_store_b128 v[18:19], v[2:5], off
	s_wait_dscnt 0x2
	global_store_b128 v[20:21], v[6:9], off
	;; [unrolled: 2-line block ×4, first 2 shown]
	s_and_b32 exec_lo, exec_lo, vcc_lo
	s_cbranch_execz .LBB0_26
; %bb.25:
	ds_load_b128 v[2:5], v83 offset:23936
	s_wait_dscnt 0x0
	global_store_b128 v[0:1], v[2:5], off offset:23936
.LBB0_26:
	s_nop 0
	s_sendmsg sendmsg(MSG_DEALLOC_VGPRS)
	s_endpgm
	.section	.rodata,"a",@progbits
	.p2align	6, 0x0
	.amdhsa_kernel fft_rtc_back_len1496_factors_17_8_11_wgs_187_tpt_187_halfLds_dp_op_CI_CI_unitstride_sbrr_R2C_dirReg
		.amdhsa_group_segment_fixed_size 0
		.amdhsa_private_segment_fixed_size 0
		.amdhsa_kernarg_size 104
		.amdhsa_user_sgpr_count 2
		.amdhsa_user_sgpr_dispatch_ptr 0
		.amdhsa_user_sgpr_queue_ptr 0
		.amdhsa_user_sgpr_kernarg_segment_ptr 1
		.amdhsa_user_sgpr_dispatch_id 0
		.amdhsa_user_sgpr_private_segment_size 0
		.amdhsa_wavefront_size32 1
		.amdhsa_uses_dynamic_stack 0
		.amdhsa_enable_private_segment 0
		.amdhsa_system_sgpr_workgroup_id_x 1
		.amdhsa_system_sgpr_workgroup_id_y 0
		.amdhsa_system_sgpr_workgroup_id_z 0
		.amdhsa_system_sgpr_workgroup_info 0
		.amdhsa_system_vgpr_workitem_id 0
		.amdhsa_next_free_vgpr 217
		.amdhsa_next_free_sgpr 60
		.amdhsa_reserve_vcc 1
		.amdhsa_float_round_mode_32 0
		.amdhsa_float_round_mode_16_64 0
		.amdhsa_float_denorm_mode_32 3
		.amdhsa_float_denorm_mode_16_64 3
		.amdhsa_fp16_overflow 0
		.amdhsa_workgroup_processor_mode 1
		.amdhsa_memory_ordered 1
		.amdhsa_forward_progress 0
		.amdhsa_round_robin_scheduling 0
		.amdhsa_exception_fp_ieee_invalid_op 0
		.amdhsa_exception_fp_denorm_src 0
		.amdhsa_exception_fp_ieee_div_zero 0
		.amdhsa_exception_fp_ieee_overflow 0
		.amdhsa_exception_fp_ieee_underflow 0
		.amdhsa_exception_fp_ieee_inexact 0
		.amdhsa_exception_int_div_zero 0
	.end_amdhsa_kernel
	.text
.Lfunc_end0:
	.size	fft_rtc_back_len1496_factors_17_8_11_wgs_187_tpt_187_halfLds_dp_op_CI_CI_unitstride_sbrr_R2C_dirReg, .Lfunc_end0-fft_rtc_back_len1496_factors_17_8_11_wgs_187_tpt_187_halfLds_dp_op_CI_CI_unitstride_sbrr_R2C_dirReg
                                        ; -- End function
	.section	.AMDGPU.csdata,"",@progbits
; Kernel info:
; codeLenInByte = 11988
; NumSgprs: 62
; NumVgprs: 217
; ScratchSize: 0
; MemoryBound: 0
; FloatMode: 240
; IeeeMode: 1
; LDSByteSize: 0 bytes/workgroup (compile time only)
; SGPRBlocks: 7
; VGPRBlocks: 27
; NumSGPRsForWavesPerEU: 62
; NumVGPRsForWavesPerEU: 217
; Occupancy: 6
; WaveLimiterHint : 1
; COMPUTE_PGM_RSRC2:SCRATCH_EN: 0
; COMPUTE_PGM_RSRC2:USER_SGPR: 2
; COMPUTE_PGM_RSRC2:TRAP_HANDLER: 0
; COMPUTE_PGM_RSRC2:TGID_X_EN: 1
; COMPUTE_PGM_RSRC2:TGID_Y_EN: 0
; COMPUTE_PGM_RSRC2:TGID_Z_EN: 0
; COMPUTE_PGM_RSRC2:TIDIG_COMP_CNT: 0
	.text
	.p2alignl 7, 3214868480
	.fill 96, 4, 3214868480
	.type	__hip_cuid_b6c767a1849097c1,@object ; @__hip_cuid_b6c767a1849097c1
	.section	.bss,"aw",@nobits
	.globl	__hip_cuid_b6c767a1849097c1
__hip_cuid_b6c767a1849097c1:
	.byte	0                               ; 0x0
	.size	__hip_cuid_b6c767a1849097c1, 1

	.ident	"AMD clang version 19.0.0git (https://github.com/RadeonOpenCompute/llvm-project roc-6.4.0 25133 c7fe45cf4b819c5991fe208aaa96edf142730f1d)"
	.section	".note.GNU-stack","",@progbits
	.addrsig
	.addrsig_sym __hip_cuid_b6c767a1849097c1
	.amdgpu_metadata
---
amdhsa.kernels:
  - .args:
      - .actual_access:  read_only
        .address_space:  global
        .offset:         0
        .size:           8
        .value_kind:     global_buffer
      - .offset:         8
        .size:           8
        .value_kind:     by_value
      - .actual_access:  read_only
        .address_space:  global
        .offset:         16
        .size:           8
        .value_kind:     global_buffer
      - .actual_access:  read_only
        .address_space:  global
        .offset:         24
        .size:           8
        .value_kind:     global_buffer
      - .actual_access:  read_only
        .address_space:  global
        .offset:         32
        .size:           8
        .value_kind:     global_buffer
      - .offset:         40
        .size:           8
        .value_kind:     by_value
      - .actual_access:  read_only
        .address_space:  global
        .offset:         48
        .size:           8
        .value_kind:     global_buffer
      - .actual_access:  read_only
        .address_space:  global
        .offset:         56
        .size:           8
        .value_kind:     global_buffer
      - .offset:         64
        .size:           4
        .value_kind:     by_value
      - .actual_access:  read_only
        .address_space:  global
        .offset:         72
        .size:           8
        .value_kind:     global_buffer
      - .actual_access:  read_only
        .address_space:  global
        .offset:         80
        .size:           8
        .value_kind:     global_buffer
      - .actual_access:  read_only
        .address_space:  global
        .offset:         88
        .size:           8
        .value_kind:     global_buffer
      - .actual_access:  write_only
        .address_space:  global
        .offset:         96
        .size:           8
        .value_kind:     global_buffer
    .group_segment_fixed_size: 0
    .kernarg_segment_align: 8
    .kernarg_segment_size: 104
    .language:       OpenCL C
    .language_version:
      - 2
      - 0
    .max_flat_workgroup_size: 187
    .name:           fft_rtc_back_len1496_factors_17_8_11_wgs_187_tpt_187_halfLds_dp_op_CI_CI_unitstride_sbrr_R2C_dirReg
    .private_segment_fixed_size: 0
    .sgpr_count:     62
    .sgpr_spill_count: 0
    .symbol:         fft_rtc_back_len1496_factors_17_8_11_wgs_187_tpt_187_halfLds_dp_op_CI_CI_unitstride_sbrr_R2C_dirReg.kd
    .uniform_work_group_size: 1
    .uses_dynamic_stack: false
    .vgpr_count:     217
    .vgpr_spill_count: 0
    .wavefront_size: 32
    .workgroup_processor_mode: 1
amdhsa.target:   amdgcn-amd-amdhsa--gfx1201
amdhsa.version:
  - 1
  - 2
...

	.end_amdgpu_metadata
